;; amdgpu-corpus repo=ROCm/rocFFT kind=compiled arch=gfx1100 opt=O3
	.text
	.amdgcn_target "amdgcn-amd-amdhsa--gfx1100"
	.amdhsa_code_object_version 6
	.protected	bluestein_single_fwd_len1664_dim1_sp_op_CI_CI ; -- Begin function bluestein_single_fwd_len1664_dim1_sp_op_CI_CI
	.globl	bluestein_single_fwd_len1664_dim1_sp_op_CI_CI
	.p2align	8
	.type	bluestein_single_fwd_len1664_dim1_sp_op_CI_CI,@function
bluestein_single_fwd_len1664_dim1_sp_op_CI_CI: ; @bluestein_single_fwd_len1664_dim1_sp_op_CI_CI
; %bb.0:
	s_load_b128 s[8:11], s[0:1], 0x28
	v_mul_u32_u24_e32 v1, 0x13c, v0
	s_mov_b32 s2, exec_lo
	v_mov_b32_e32 v33, 0
	s_delay_alu instid0(VALU_DEP_2) | instskip(NEXT) | instid1(VALU_DEP_1)
	v_lshrrev_b32_e32 v1, 16, v1
	v_add_nc_u32_e32 v32, s15, v1
	s_waitcnt lgkmcnt(0)
	s_delay_alu instid0(VALU_DEP_1)
	v_cmpx_gt_u64_e64 s[8:9], v[32:33]
	s_cbranch_execz .LBB0_15
; %bb.1:
	v_mul_lo_u16 v1, 0xd0, v1
	s_clause 0x1
	s_load_b64 s[12:13], s[0:1], 0x0
	s_load_b64 s[8:9], s[0:1], 0x38
	s_delay_alu instid0(VALU_DEP_1) | instskip(NEXT) | instid1(VALU_DEP_1)
	v_sub_nc_u16 v0, v0, v1
	v_and_b32_e32 v79, 0xffff, v0
	v_cmp_gt_u16_e32 vcc_lo, 0x80, v0
	s_delay_alu instid0(VALU_DEP_2)
	v_lshlrev_b32_e32 v92, 3, v79
	v_or_b32_e32 v80, 0x80, v79
	v_or_b32_e32 v81, 0x100, v79
	;; [unrolled: 1-line block ×12, first 2 shown]
	s_and_saveexec_b32 s3, vcc_lo
	s_cbranch_execz .LBB0_3
; %bb.2:
	s_load_b64 s[4:5], s[0:1], 0x18
	v_lshlrev_b32_e32 v36, 3, v85
	s_waitcnt lgkmcnt(0)
	s_load_b128 s[4:7], s[4:5], 0x0
	s_clause 0x3
	global_load_b64 v[0:1], v92, s[12:13]
	global_load_b64 v[2:3], v92, s[12:13] offset:1024
	global_load_b64 v[4:5], v92, s[12:13] offset:2048
	;; [unrolled: 1-line block ×3, first 2 shown]
	s_waitcnt lgkmcnt(0)
	v_mad_u64_u32 v[8:9], null, s6, v32, 0
	v_mad_u64_u32 v[10:11], null, s4, v79, 0
	;; [unrolled: 1-line block ×5, first 2 shown]
	s_delay_alu instid0(VALU_DEP_4) | instskip(NEXT) | instid1(VALU_DEP_4)
	v_mad_u64_u32 v[24:25], null, s7, v32, v[9:10]
	v_mad_u64_u32 v[25:26], null, s5, v79, v[11:12]
	;; [unrolled: 1-line block ×4, first 2 shown]
	s_delay_alu instid0(VALU_DEP_4)
	v_mov_b32_e32 v9, v24
	v_mad_u64_u32 v[20:21], null, s4, v84, 0
	v_mad_u64_u32 v[22:23], null, s4, v85, 0
	;; [unrolled: 1-line block ×3, first 2 shown]
	v_mov_b32_e32 v11, v25
	v_lshlrev_b64 v[8:9], 3, v[8:9]
	v_mad_u64_u32 v[28:29], null, s5, v82, v[17:18]
	v_mov_b32_e32 v13, v26
	v_mad_u64_u32 v[29:30], null, s5, v83, v[19:20]
	v_mad_u64_u32 v[30:31], null, s5, v84, v[21:22]
	v_lshlrev_b64 v[10:11], 3, v[10:11]
	v_mov_b32_e32 v15, v27
	v_add_co_u32 v31, s2, s10, v8
	v_lshlrev_b64 v[12:13], 3, v[12:13]
	v_add_co_ci_u32_e64 v52, s2, s11, v9, s2
	v_mov_b32_e32 v17, v28
	v_lshlrev_b64 v[14:15], 3, v[14:15]
	v_add_co_u32 v10, s2, v31, v10
	v_mad_u64_u32 v[38:39], null, s4, v89, 0
	v_mov_b32_e32 v19, v29
	v_add_co_ci_u32_e64 v11, s2, v52, v11, s2
	v_lshlrev_b64 v[16:17], 3, v[16:17]
	v_add_co_u32 v12, s2, v31, v12
	s_delay_alu instid0(VALU_DEP_1) | instskip(SKIP_2) | instid1(VALU_DEP_1)
	v_add_co_ci_u32_e64 v13, s2, v52, v13, s2
	v_lshlrev_b64 v[8:9], 3, v[18:19]
	v_add_co_u32 v14, s2, v31, v14
	v_add_co_ci_u32_e64 v15, s2, v52, v15, s2
	v_add_co_u32 v16, s2, v31, v16
	s_delay_alu instid0(VALU_DEP_1) | instskip(SKIP_1) | instid1(VALU_DEP_1)
	v_add_co_ci_u32_e64 v17, s2, v52, v17, s2
	v_add_co_u32 v8, s2, v31, v8
	v_add_co_ci_u32_e64 v9, s2, v52, v9, s2
	v_mad_u64_u32 v[45:46], null, s4, v91, 0
	v_lshlrev_b32_e32 v27, 3, v83
	s_clause 0x4
	global_load_b64 v[10:11], v[10:11], off
	global_load_b64 v[12:13], v[12:13], off
	;; [unrolled: 1-line block ×5, first 2 shown]
	global_load_b64 v[27:28], v27, s[12:13]
	v_mov_b32_e32 v21, v30
	v_mad_u64_u32 v[24:25], null, s5, v85, v[23:24]
	s_delay_alu instid0(VALU_DEP_2) | instskip(SKIP_1) | instid1(VALU_DEP_3)
	v_lshlrev_b64 v[18:19], 3, v[20:21]
	v_mad_u64_u32 v[20:21], null, s4, v86, 0
	v_mov_b32_e32 v23, v24
	s_delay_alu instid0(VALU_DEP_3) | instskip(NEXT) | instid1(VALU_DEP_1)
	v_add_co_u32 v18, s2, v31, v18
	v_add_co_ci_u32_e64 v19, s2, v52, v19, s2
	s_delay_alu instid0(VALU_DEP_4)
	v_mad_u64_u32 v[24:25], null, s5, v86, v[21:22]
	v_mad_u64_u32 v[25:26], null, s4, v87, 0
	v_lshlrev_b32_e32 v21, 3, v84
	global_load_b64 v[18:19], v[18:19], off
	global_load_b64 v[29:30], v21, s[12:13]
	v_dual_mov_b32 v21, v24 :: v_dual_mov_b32 v24, v26
	v_lshlrev_b64 v[22:23], 3, v[22:23]
	s_delay_alu instid0(VALU_DEP_2) | instskip(NEXT) | instid1(VALU_DEP_3)
	v_lshlrev_b64 v[20:21], 3, v[20:21]
	v_mad_u64_u32 v[33:34], null, s5, v87, v[24:25]
	v_mad_u64_u32 v[34:35], null, s4, v88, 0
	s_delay_alu instid0(VALU_DEP_4) | instskip(NEXT) | instid1(VALU_DEP_1)
	v_add_co_u32 v22, s2, v31, v22
	v_add_co_ci_u32_e64 v23, s2, v52, v23, s2
	s_delay_alu instid0(VALU_DEP_4) | instskip(SKIP_3) | instid1(VALU_DEP_4)
	v_mov_b32_e32 v26, v33
	v_add_co_u32 v20, s2, v31, v20
	v_mov_b32_e32 v24, v35
	v_add_co_ci_u32_e64 v21, s2, v52, v21, s2
	v_lshlrev_b64 v[25:26], 3, v[25:26]
	v_lshlrev_b32_e32 v33, 3, v86
	global_load_b64 v[22:23], v[22:23], off
	global_load_b64 v[36:37], v36, s[12:13]
	global_load_b64 v[20:21], v[20:21], off
	v_mad_u64_u32 v[40:41], null, s5, v88, v[24:25]
	v_mad_u64_u32 v[41:42], null, s4, v90, 0
	v_add_co_u32 v24, s2, v31, v25
	s_delay_alu instid0(VALU_DEP_1) | instskip(NEXT) | instid1(VALU_DEP_4)
	v_add_co_ci_u32_e64 v25, s2, v52, v26, s2
	v_dual_mov_b32 v26, v39 :: v_dual_mov_b32 v35, v40
	global_load_b64 v[24:25], v[24:25], off
	s_waitcnt vmcnt(11)
	v_mul_f32_e32 v58, v11, v1
	global_load_b64 v[43:44], v33, s[12:13]
	s_waitcnt vmcnt(11)
	v_mul_f32_e32 v60, v13, v3
	s_waitcnt vmcnt(9)
	v_dual_mul_f32 v62, v14, v5 :: v_dual_mul_f32 v63, v16, v7
	v_fmac_f32_e32 v58, v10, v0
	s_waitcnt vmcnt(7)
	v_mad_u64_u32 v[39:40], null, s5, v89, v[26:27]
	v_mov_b32_e32 v26, v42
	v_lshlrev_b32_e32 v40, 3, v87
	v_mul_f32_e32 v64, v8, v28
	v_fmac_f32_e32 v60, v12, v2
	s_delay_alu instid0(VALU_DEP_4)
	v_mad_u64_u32 v[47:48], null, s5, v90, v[26:27]
	v_mov_b32_e32 v26, v46
	global_load_b64 v[48:49], v40, s[12:13]
	v_lshlrev_b64 v[33:34], 3, v[34:35]
	v_lshlrev_b64 v[38:39], 3, v[38:39]
	v_lshlrev_b32_e32 v35, 3, v89
	v_mad_u64_u32 v[50:51], null, s5, v91, v[26:27]
	v_mov_b32_e32 v42, v47
	v_add_co_u32 v33, s2, v31, v33
	s_delay_alu instid0(VALU_DEP_1) | instskip(NEXT) | instid1(VALU_DEP_3)
	v_add_co_ci_u32_e64 v34, s2, v52, v34, s2
	v_lshlrev_b64 v[40:41], 3, v[41:42]
	v_mov_b32_e32 v46, v50
	v_add_co_u32 v38, s2, v31, v38
	v_lshlrev_b32_e32 v26, 3, v88
	v_add_co_ci_u32_e64 v39, s2, v52, v39, s2
	s_delay_alu instid0(VALU_DEP_4) | instskip(SKIP_1) | instid1(VALU_DEP_1)
	v_lshlrev_b64 v[45:46], 3, v[45:46]
	v_add_co_u32 v40, s2, v31, v40
	v_add_co_ci_u32_e64 v41, s2, v52, v41, s2
	global_load_b64 v[33:34], v[33:34], off
	global_load_b64 v[50:51], v26, s[12:13]
	global_load_b64 v[38:39], v[38:39], off
	v_lshlrev_b32_e32 v26, 3, v90
	v_add_co_u32 v45, s2, v31, v45
	v_dual_mul_f32 v31, v10, v1 :: v_dual_lshlrev_b32 v42, 3, v91
	v_add_co_ci_u32_e64 v46, s2, v52, v46, s2
	global_load_b64 v[52:53], v35, s[12:13]
	global_load_b64 v[40:41], v[40:41], off
	s_clause 0x1
	global_load_b64 v[54:55], v26, s[12:13]
	global_load_b64 v[56:57], v42, s[12:13]
	global_load_b64 v[45:46], v[45:46], off
	v_mul_f32_e32 v47, v12, v3
	v_mul_f32_e32 v1, v15, v5
	;; [unrolled: 1-line block ×4, first 2 shown]
	s_waitcnt vmcnt(14)
	v_mul_f32_e32 v7, v19, v30
	s_waitcnt vmcnt(12)
	v_dual_mul_f32 v65, v18, v30 :: v_dual_mul_f32 v26, v23, v37
	v_mul_f32_e32 v66, v22, v37
	v_fma_f32 v59, v11, v0, -v31
	v_fma_f32 v61, v13, v2, -v47
	;; [unrolled: 1-line block ×3, first 2 shown]
	v_fmac_f32_e32 v1, v14, v4
	v_fmac_f32_e32 v3, v16, v6
	v_fma_f32 v4, v17, v6, -v63
	v_fma_f32 v6, v9, v27, -v64
	v_fmac_f32_e32 v26, v22, v36
	s_waitcnt vmcnt(9)
	v_mul_f32_e32 v28, v21, v44
	v_mul_f32_e32 v67, v20, v44
	s_delay_alu instid0(VALU_DEP_2) | instskip(SKIP_3) | instid1(VALU_DEP_2)
	v_dual_fmac_f32 v7, v18, v29 :: v_dual_fmac_f32 v28, v20, v43
	s_waitcnt vmcnt(8)
	v_mul_f32_e32 v30, v25, v49
	v_mul_f32_e32 v49, v24, v49
	v_fmac_f32_e32 v30, v24, v48
	s_delay_alu instid0(VALU_DEP_2)
	v_fma_f32 v31, v25, v48, -v49
	s_waitcnt vmcnt(6)
	v_mul_f32_e32 v35, v34, v51
	v_mul_f32_e32 v51, v33, v51
	s_waitcnt vmcnt(4)
	v_mul_f32_e32 v37, v39, v53
	s_waitcnt vmcnt(2)
	v_dual_mul_f32 v53, v38, v53 :: v_dual_mul_f32 v42, v41, v55
	s_waitcnt vmcnt(0)
	v_dual_fmac_f32 v35, v33, v50 :: v_dual_mul_f32 v44, v46, v57
	v_mul_f32_e32 v55, v40, v55
	s_delay_alu instid0(VALU_DEP_3)
	v_dual_mul_f32 v57, v45, v57 :: v_dual_fmac_f32 v42, v40, v54
	v_fmac_f32_e32 v5, v8, v27
	v_fma_f32 v8, v19, v29, -v65
	v_fma_f32 v27, v23, v36, -v66
	;; [unrolled: 1-line block ×4, first 2 shown]
	v_fmac_f32_e32 v37, v38, v52
	v_fma_f32 v38, v39, v52, -v53
	v_fmac_f32_e32 v44, v45, v56
	v_fma_f32 v43, v41, v54, -v55
	v_fma_f32 v45, v46, v56, -v57
	ds_store_2addr_stride64_b64 v92, v[58:59], v[60:61] offset1:2
	ds_store_2addr_stride64_b64 v92, v[1:2], v[3:4] offset0:4 offset1:6
	ds_store_2addr_stride64_b64 v92, v[5:6], v[7:8] offset0:8 offset1:10
	;; [unrolled: 1-line block ×5, first 2 shown]
	ds_store_b64 v92, v[44:45] offset:12288
.LBB0_3:
	s_or_b32 exec_lo, exec_lo, s3
	s_clause 0x1
	s_load_b64 s[4:5], s[0:1], 0x20
	s_load_b64 s[2:3], s[0:1], 0x8
	v_mov_b32_e32 v8, 0
	v_mov_b32_e32 v9, 0
	s_waitcnt lgkmcnt(0)
	s_barrier
	buffer_gl0_inv
                                        ; implicit-def: $vgpr22
                                        ; implicit-def: $vgpr16
                                        ; implicit-def: $vgpr12
                                        ; implicit-def: $vgpr35
                                        ; implicit-def: $vgpr26
                                        ; implicit-def: $vgpr30
	s_and_saveexec_b32 s0, vcc_lo
	s_cbranch_execz .LBB0_5
; %bb.4:
	ds_load_2addr_stride64_b64 v[8:11], v92 offset1:2
	ds_load_2addr_stride64_b64 v[28:31], v92 offset0:4 offset1:6
	ds_load_2addr_stride64_b64 v[24:27], v92 offset0:8 offset1:10
	;; [unrolled: 1-line block ×5, first 2 shown]
	ds_load_b64 v[35:36], v92 offset:12288
.LBB0_5:
	s_or_b32 exec_lo, exec_lo, s0
	s_waitcnt lgkmcnt(0)
	v_dual_sub_f32 v78, v11, v36 :: v_dual_sub_f32 v95, v10, v35
	v_dual_add_f32 v37, v35, v10 :: v_dual_add_f32 v38, v36, v11
	v_dual_sub_f32 v97, v29, v15 :: v_dual_sub_f32 v98, v28, v14
	s_delay_alu instid0(VALU_DEP_3) | instskip(NEXT) | instid1(VALU_DEP_4)
	v_mul_f32_e32 v51, 0xbf52af12, v95
	v_dual_mul_f32 v55, 0xbf7e222b, v78 :: v_dual_mul_f32 v62, 0xbf7e222b, v95
	s_delay_alu instid0(VALU_DEP_3) | instskip(NEXT) | instid1(VALU_DEP_3)
	v_dual_add_f32 v40, v15, v29 :: v_dual_mul_f32 v59, 0xbf6f5d39, v98
	v_fma_f32 v3, 0x3f116cb1, v38, -v51
	v_mul_f32_e32 v44, 0xbeedf032, v95
	v_dual_mul_f32 v45, 0xbf52af12, v97 :: v_dual_mul_f32 v48, 0xbf52af12, v98
	v_dual_fmamk_f32 v4, v37, 0x3df6dbef, v55 :: v_dual_sub_f32 v99, v31, v13
	s_delay_alu instid0(VALU_DEP_4) | instskip(NEXT) | instid1(VALU_DEP_4)
	v_add_f32_e32 v3, v3, v9
	v_fma_f32 v1, 0x3f62ad3f, v38, -v44
	v_dual_mul_f32 v42, 0xbeedf032, v78 :: v_dual_add_f32 v39, v14, v28
	v_fma_f32 v6, 0x3f116cb1, v40, -v48
	v_fma_f32 v33, 0xbeb58ec6, v40, -v59
	s_delay_alu instid0(VALU_DEP_4) | instskip(NEXT) | instid1(VALU_DEP_4)
	v_add_f32_e32 v1, v1, v9
	v_fmamk_f32 v0, v37, 0x3f62ad3f, v42
	v_mul_f32_e32 v49, 0xbf52af12, v78
	s_delay_alu instid0(VALU_DEP_4) | instskip(SKIP_1) | instid1(VALU_DEP_4)
	v_dual_mul_f32 v56, 0xbf6f5d39, v97 :: v_dual_add_f32 v3, v33, v3
	v_dual_sub_f32 v100, v30, v12 :: v_dual_add_f32 v41, v12, v30
	v_add_f32_e32 v0, v0, v8
	s_delay_alu instid0(VALU_DEP_4) | instskip(SKIP_1) | instid1(VALU_DEP_2)
	v_dual_fmamk_f32 v2, v37, 0x3f116cb1, v49 :: v_dual_add_f32 v1, v6, v1
	v_dual_add_f32 v4, v4, v8 :: v_dual_fmamk_f32 v5, v39, 0x3f116cb1, v45
	v_dual_fmamk_f32 v7, v39, 0xbeb58ec6, v56 :: v_dual_add_f32 v2, v2, v8
	v_dual_add_f32 v43, v13, v31 :: v_dual_mul_f32 v52, 0xbf7e222b, v100
	s_delay_alu instid0(VALU_DEP_3) | instskip(NEXT) | instid1(VALU_DEP_3)
	v_dual_add_f32 v0, v5, v0 :: v_dual_mul_f32 v67, 0xbe750f2a, v97
	v_add_f32_e32 v2, v7, v2
	v_dual_sub_f32 v104, v25, v19 :: v_dual_add_f32 v47, v19, v25
	s_delay_alu instid0(VALU_DEP_4) | instskip(SKIP_3) | instid1(VALU_DEP_3)
	v_fma_f32 v7, 0x3df6dbef, v43, -v52
	v_mul_f32_e32 v50, 0xbf7e222b, v99
	v_sub_f32_e32 v114, v26, v16
	v_dual_sub_f32 v110, v27, v17 :: v_dual_sub_f32 v121, v21, v23
	v_dual_add_f32 v1, v7, v1 :: v_dual_fmamk_f32 v6, v41, 0x3df6dbef, v50
	v_dual_fmamk_f32 v5, v39, 0xbf788fa5, v67 :: v_dual_sub_f32 v106, v24, v18
	v_add_f32_e32 v46, v18, v24
	v_mul_f32_e32 v57, 0xbf6f5d39, v104
	s_delay_alu instid0(VALU_DEP_4) | instskip(NEXT) | instid1(VALU_DEP_4)
	v_dual_add_f32 v0, v6, v0 :: v_dual_mul_f32 v63, 0xbe750f2a, v99
	v_add_f32_e32 v4, v5, v4
	v_mul_f32_e32 v58, 0xbf6f5d39, v106
	v_mul_f32_e32 v71, 0x3f29c268, v106
	;; [unrolled: 1-line block ×3, first 2 shown]
	v_fmamk_f32 v33, v41, 0xbf788fa5, v63
	v_mul_f32_e32 v65, 0xbe750f2a, v100
	v_fma_f32 v7, 0xbeb58ec6, v47, -v58
	v_mul_f32_e32 v70, 0x3f6f5d39, v99
	v_dual_add_f32 v54, v17, v27 :: v_dual_mul_f32 v77, 0xbf52af12, v110
	v_add_f32_e32 v2, v33, v2
	v_fma_f32 v34, 0xbf788fa5, v43, -v65
	v_mul_f32_e32 v73, 0x3f7e222b, v110
	v_mul_f32_e32 v66, 0xbf29c268, v114
	v_dual_fmamk_f32 v6, v46, 0xbeb58ec6, v57 :: v_dual_add_f32 v1, v7, v1
	s_delay_alu instid0(VALU_DEP_4) | instskip(SKIP_4) | instid1(VALU_DEP_4)
	v_add_f32_e32 v3, v34, v3
	v_fma_f32 v34, 0xbf3f9e67, v47, -v71
	v_mul_f32_e32 v68, 0x3f29c268, v104
	v_fmamk_f32 v5, v41, 0xbeb58ec6, v70
	v_fma_f32 v7, 0xbf3f9e67, v54, -v66
	v_dual_mul_f32 v74, 0x3eedf032, v104 :: v_dual_add_f32 v3, v34, v3
	s_delay_alu instid0(VALU_DEP_3) | instskip(SKIP_1) | instid1(VALU_DEP_2)
	v_dual_fmamk_f32 v33, v46, 0xbf3f9e67, v68 :: v_dual_add_f32 v4, v5, v4
	v_dual_add_f32 v0, v6, v0 :: v_dual_add_f32 v53, v16, v26
	v_dual_add_f32 v1, v7, v1 :: v_dual_add_f32 v2, v33, v2
	s_delay_alu instid0(VALU_DEP_4) | instskip(SKIP_3) | instid1(VALU_DEP_4)
	v_fmamk_f32 v5, v46, 0x3f62ad3f, v74
	v_fma_f32 v33, 0x3df6dbef, v54, -v75
	v_mul_f32_e32 v64, 0xbf29c268, v110
	v_dual_sub_f32 v123, v20, v22 :: v_dual_add_f32 v60, v22, v20
	v_dual_add_f32 v4, v5, v4 :: v_dual_add_f32 v61, v23, v21
	s_delay_alu instid0(VALU_DEP_4) | instskip(NEXT) | instid1(VALU_DEP_4)
	v_add_f32_e32 v3, v33, v3
	v_fmamk_f32 v6, v53, 0xbf3f9e67, v64
	v_fmamk_f32 v5, v53, 0x3df6dbef, v73
	v_dual_mul_f32 v69, 0xbe750f2a, v121 :: v_dual_mul_f32 v72, 0xbe750f2a, v123
	s_delay_alu instid0(VALU_DEP_3) | instskip(NEXT) | instid1(VALU_DEP_3)
	v_dual_mul_f32 v103, 0xbe750f2a, v98 :: v_dual_add_f32 v0, v6, v0
	v_add_f32_e32 v2, v5, v2
	v_fmamk_f32 v5, v53, 0x3f116cb1, v77
	v_fma_f32 v94, 0x3df6dbef, v38, -v62
	v_dual_mul_f32 v76, 0x3eedf032, v121 :: v_dual_mul_f32 v93, 0x3eedf032, v123
	v_fma_f32 v6, 0xbf788fa5, v61, -v72
	s_delay_alu instid0(VALU_DEP_4) | instskip(NEXT) | instid1(VALU_DEP_3)
	v_dual_add_f32 v4, v5, v4 :: v_dual_fmamk_f32 v5, v60, 0xbf788fa5, v69
	v_fmamk_f32 v7, v60, 0x3f62ad3f, v76
	s_delay_alu instid0(VALU_DEP_4) | instskip(NEXT) | instid1(VALU_DEP_4)
	v_fma_f32 v101, 0x3f62ad3f, v61, -v93
	v_add_f32_e32 v34, v6, v1
	s_delay_alu instid0(VALU_DEP_4) | instskip(NEXT) | instid1(VALU_DEP_3)
	v_dual_mul_f32 v96, 0xbf29c268, v121 :: v_dual_add_f32 v33, v5, v0
	v_dual_add_f32 v0, v94, v9 :: v_dual_add_f32 v3, v101, v3
	v_fma_f32 v1, 0xbf788fa5, v40, -v103
	s_delay_alu instid0(VALU_DEP_3) | instskip(SKIP_2) | instid1(VALU_DEP_4)
	v_dual_add_f32 v2, v7, v2 :: v_dual_fmamk_f32 v5, v60, 0xbf3f9e67, v96
	v_mul_f32_e32 v101, 0x3eedf032, v106
	v_mul_f32_e32 v111, 0xbf6f5d39, v78
	v_add_f32_e32 v1, v1, v0
	v_mul_f32_e32 v102, 0x3f6f5d39, v100
	v_add_f32_e32 v0, v5, v4
	v_fma_f32 v4, 0x3f62ad3f, v47, -v101
	v_fmamk_f32 v5, v37, 0xbeb58ec6, v111
	v_mul_f32_e32 v113, 0x3f29c268, v97
	v_fma_f32 v6, 0xbeb58ec6, v43, -v102
	v_dual_mul_f32 v105, 0xbf29c268, v123 :: v_dual_mul_f32 v124, 0xbf29c268, v78
	v_mul_f32_e32 v119, 0x3f29c268, v98
	s_delay_alu instid0(VALU_DEP_3) | instskip(SKIP_1) | instid1(VALU_DEP_3)
	v_dual_mul_f32 v108, 0x3eedf032, v99 :: v_dual_add_f32 v1, v6, v1
	v_dual_mul_f32 v109, 0xbf7e222b, v104 :: v_dual_mul_f32 v116, 0xbf7e222b, v106
	v_fma_f32 v7, 0xbf3f9e67, v40, -v119
	s_delay_alu instid0(VALU_DEP_3) | instskip(SKIP_3) | instid1(VALU_DEP_4)
	v_dual_mul_f32 v134, 0xbf29c268, v95 :: v_dual_add_f32 v1, v4, v1
	v_dual_add_f32 v4, v5, v8 :: v_dual_fmamk_f32 v5, v39, 0xbf3f9e67, v113
	v_mul_f32_e32 v117, 0xbf6f5d39, v95
	v_mul_f32_e32 v112, 0x3e750f2a, v110
	v_fma_f32 v125, 0xbf3f9e67, v38, -v134
	s_delay_alu instid0(VALU_DEP_4) | instskip(NEXT) | instid1(VALU_DEP_4)
	v_dual_mul_f32 v135, 0x3f7e222b, v98 :: v_dual_add_f32 v4, v5, v4
	v_fma_f32 v6, 0xbeb58ec6, v38, -v117
	v_dual_mul_f32 v128, 0xbf52af12, v99 :: v_dual_mul_f32 v133, 0xbf52af12, v100
	s_delay_alu instid0(VALU_DEP_4) | instskip(NEXT) | instid1(VALU_DEP_4)
	v_add_f32_e32 v125, v125, v9
	v_fma_f32 v130, 0x3df6dbef, v40, -v135
	s_delay_alu instid0(VALU_DEP_4) | instskip(SKIP_2) | instid1(VALU_DEP_4)
	v_add_f32_e32 v6, v6, v9
	v_mul_f32_e32 v120, 0x3eedf032, v100
	v_dual_mul_f32 v127, 0x3e750f2a, v104 :: v_dual_mul_f32 v132, 0x3e750f2a, v106
	v_add_f32_e32 v125, v130, v125
	s_delay_alu instid0(VALU_DEP_4) | instskip(NEXT) | instid1(VALU_DEP_4)
	v_add_f32_e32 v5, v7, v6
	v_fma_f32 v7, 0x3f62ad3f, v43, -v120
	v_fmamk_f32 v6, v41, 0x3f62ad3f, v108
	v_fma_f32 v130, 0x3f116cb1, v43, -v133
	v_dual_mul_f32 v115, 0x3f52af12, v121 :: v_dual_mul_f32 v122, 0x3f52af12, v123
	s_delay_alu instid0(VALU_DEP_3)
	v_dual_add_f32 v5, v7, v5 :: v_dual_add_f32 v4, v6, v4
	v_fma_f32 v7, 0x3df6dbef, v47, -v116
	v_fmamk_f32 v6, v46, 0x3df6dbef, v109
	v_add_f32_e32 v130, v130, v125
	v_fma_f32 v137, 0xbf788fa5, v47, -v132
	v_fma_f32 v139, 0x3f116cb1, v61, -v122
	s_delay_alu instid0(VALU_DEP_4) | instskip(SKIP_3) | instid1(VALU_DEP_3)
	v_dual_add_f32 v5, v7, v5 :: v_dual_add_f32 v4, v6, v4
	v_fmamk_f32 v6, v53, 0xbf788fa5, v112
	v_mul_f32_e32 v118, 0x3e750f2a, v114
	v_dual_add_f32 v137, v137, v130 :: v_dual_mul_f32 v130, 0xbf6f5d39, v123
	v_dual_mul_f32 v125, 0xbf6f5d39, v121 :: v_dual_add_f32 v4, v6, v4
	v_fmamk_f32 v6, v37, 0xbf3f9e67, v124
	v_mul_f32_e32 v107, 0xbf52af12, v114
	v_fma_f32 v7, 0xbf788fa5, v54, -v118
	s_delay_alu instid0(VALU_DEP_4) | instskip(NEXT) | instid1(VALU_DEP_4)
	v_fmamk_f32 v140, v60, 0xbeb58ec6, v125
	v_dual_add_f32 v6, v6, v8 :: v_dual_mul_f32 v129, 0x3f7e222b, v97
	s_delay_alu instid0(VALU_DEP_3)
	v_add_f32_e32 v5, v7, v5
	v_fmamk_f32 v7, v60, 0x3f116cb1, v115
	v_fma_f32 v94, 0x3f116cb1, v54, -v107
	v_fmamk_f32 v136, v46, 0xbf788fa5, v127
	v_fmamk_f32 v126, v39, 0x3df6dbef, v129
	s_barrier
	buffer_gl0_inv
	v_add_f32_e32 v1, v94, v1
	v_fma_f32 v94, 0xbf3f9e67, v61, -v105
	v_add_f32_e32 v6, v126, v6
	v_fmamk_f32 v126, v41, 0x3f116cb1, v128
	v_mul_f32_e32 v131, 0x3eedf032, v114
	s_delay_alu instid0(VALU_DEP_4) | instskip(SKIP_1) | instid1(VALU_DEP_4)
	v_add_f32_e32 v1, v94, v1
	v_mul_lo_u16 v94, v79, 13
	v_add_f32_e32 v6, v126, v6
	s_delay_alu instid0(VALU_DEP_4) | instskip(SKIP_1) | instid1(VALU_DEP_2)
	v_fma_f32 v138, 0x3f62ad3f, v54, -v131
	v_mul_f32_e32 v126, 0x3eedf032, v110
	v_dual_add_f32 v6, v136, v6 :: v_dual_add_f32 v137, v138, v137
	v_fma_f32 v138, 0xbeb58ec6, v61, -v130
	s_delay_alu instid0(VALU_DEP_3) | instskip(NEXT) | instid1(VALU_DEP_1)
	v_fmamk_f32 v136, v53, 0x3f62ad3f, v126
	v_add_f32_e32 v136, v136, v6
	v_add_f32_e32 v6, v7, v4
	;; [unrolled: 1-line block ×3, first 2 shown]
	s_delay_alu instid0(VALU_DEP_3)
	v_dual_add_f32 v5, v138, v137 :: v_dual_add_f32 v4, v140, v136
	s_and_saveexec_b32 s0, vcc_lo
	s_cbranch_execz .LBB0_7
; %bb.6:
	v_dual_mul_f32 v95, 0xbe750f2a, v95 :: v_dual_mul_f32 v78, 0xbe750f2a, v78
	v_dual_mul_f32 v144, 0xbf3f9e67, v37 :: v_dual_mul_f32 v145, 0xbf3f9e67, v38
	v_mul_f32_e32 v153, 0xbf29c268, v99
	s_delay_alu instid0(VALU_DEP_3)
	v_fmamk_f32 v146, v38, 0xbf788fa5, v95
	v_mul_f32_e32 v147, 0x3eedf032, v98
	v_mul_f32_e32 v104, 0x3f52af12, v104
	v_add_f32_e32 v134, v134, v145
	v_sub_f32_e32 v124, v144, v124
	v_add_f32_e32 v98, v146, v9
	v_fmamk_f32 v146, v40, 0x3f62ad3f, v147
	v_mul_f32_e32 v150, 0xbf29c268, v100
	v_fma_f32 v100, 0xbf788fa5, v37, -v78
	v_dual_mul_f32 v151, 0xbeb58ec6, v39 :: v_dual_add_f32 v134, v134, v9
	v_add_f32_e32 v124, v124, v8
	v_dual_mul_f32 v142, 0xbeb58ec6, v37 :: v_dual_mul_f32 v143, 0xbeb58ec6, v38
	s_delay_alu instid0(VALU_DEP_4) | instskip(SKIP_3) | instid1(VALU_DEP_3)
	v_add_f32_e32 v100, v100, v8
	v_dual_mul_f32 v152, 0x3eedf032, v97 :: v_dual_add_f32 v97, v146, v98
	v_fmamk_f32 v98, v43, 0xbf3f9e67, v150
	v_dual_mul_f32 v140, 0x3df6dbef, v37 :: v_dual_mul_f32 v141, 0x3df6dbef, v38
	v_fma_f32 v146, 0x3f62ad3f, v39, -v152
	s_delay_alu instid0(VALU_DEP_3) | instskip(SKIP_1) | instid1(VALU_DEP_4)
	v_dual_mul_f32 v154, 0xbf788fa5, v39 :: v_dual_add_f32 v97, v98, v97
	v_mul_f32_e32 v106, 0x3f52af12, v106
	v_add_f32_e32 v62, v62, v141
	s_delay_alu instid0(VALU_DEP_4) | instskip(SKIP_4) | instid1(VALU_DEP_4)
	v_add_f32_e32 v99, v146, v100
	v_fma_f32 v100, 0xbf3f9e67, v41, -v153
	v_dual_mul_f32 v138, 0x3f116cb1, v37 :: v_dual_mul_f32 v139, 0x3f116cb1, v38
	v_fmamk_f32 v98, v47, 0x3f116cb1, v106
	v_dual_mul_f32 v136, 0x3f62ad3f, v37 :: v_dual_mul_f32 v137, 0x3f62ad3f, v38
	v_add_f32_e32 v99, v100, v99
	v_fma_f32 v100, 0x3f116cb1, v46, -v104
	s_delay_alu instid0(VALU_DEP_4) | instskip(SKIP_3) | instid1(VALU_DEP_4)
	v_dual_add_f32 v97, v98, v97 :: v_dual_mul_f32 v114, 0xbf6f5d39, v114
	v_mul_f32_e32 v121, 0x3f7e222b, v121
	v_dual_mul_f32 v148, 0x3f116cb1, v39 :: v_dual_mul_f32 v149, 0x3f116cb1, v40
	v_fmac_f32_e32 v153, 0xbf3f9e67, v41
	v_fmamk_f32 v98, v54, 0xbeb58ec6, v114
	s_delay_alu instid0(VALU_DEP_4) | instskip(NEXT) | instid1(VALU_DEP_4)
	v_fma_f32 v155, 0x3df6dbef, v60, -v121
	v_sub_f32_e32 v45, v148, v45
	v_fmac_f32_e32 v121, 0x3df6dbef, v60
	v_add_f32_e32 v117, v117, v143
	v_dual_add_f32 v97, v98, v97 :: v_dual_add_f32 v98, v100, v99
	v_mul_f32_e32 v100, 0x3df6dbef, v40
	v_mul_f32_e32 v123, 0x3f7e222b, v123
	v_sub_f32_e32 v111, v142, v111
	v_mul_f32_e32 v143, 0x3f62ad3f, v43
	s_delay_alu instid0(VALU_DEP_4) | instskip(NEXT) | instid1(VALU_DEP_4)
	v_dual_add_f32 v117, v117, v9 :: v_dual_add_f32 v100, v135, v100
	v_fmamk_f32 v145, v61, 0x3df6dbef, v123
	v_mul_f32_e32 v135, 0xbf788fa5, v40
	v_dual_mul_f32 v142, 0xbf3f9e67, v54 :: v_dual_sub_f32 v55, v140, v55
	s_delay_alu instid0(VALU_DEP_4) | instskip(SKIP_1) | instid1(VALU_DEP_4)
	v_add_f32_e32 v100, v100, v134
	v_mul_f32_e32 v134, 0x3df6dbef, v39
	v_dual_mul_f32 v110, 0xbf6f5d39, v110 :: v_dual_add_f32 v103, v103, v135
	v_dual_add_f32 v120, v120, v143 :: v_dual_mul_f32 v143, 0x3f62ad3f, v46
	s_delay_alu instid0(VALU_DEP_3) | instskip(NEXT) | instid1(VALU_DEP_3)
	v_sub_f32_e32 v129, v134, v129
	v_fma_f32 v99, 0xbeb58ec6, v53, -v110
	v_add_f32_e32 v111, v111, v8
	v_mul_f32_e32 v141, 0x3f116cb1, v54
	v_mul_f32_e32 v135, 0xbf788fa5, v60
	s_delay_alu instid0(VALU_DEP_4) | instskip(SKIP_3) | instid1(VALU_DEP_4)
	v_dual_add_f32 v124, v129, v124 :: v_dual_add_f32 v99, v99, v98
	v_mul_f32_e32 v146, 0xbeb58ec6, v40
	v_dual_add_f32 v98, v145, v97 :: v_dual_mul_f32 v129, 0x3f62ad3f, v54
	v_mul_f32_e32 v145, 0xbf3f9e67, v39
	v_add_f32_e32 v97, v155, v99
	v_mul_f32_e32 v99, 0x3f116cb1, v43
	v_mul_f32_e32 v155, 0xbeb58ec6, v47
	v_add_f32_e32 v129, v131, v129
	v_sub_f32_e32 v113, v145, v113
	v_mul_f32_e32 v131, 0xbf788fa5, v43
	v_add_f32_e32 v99, v133, v99
	v_mul_f32_e32 v133, 0xbf788fa5, v47
	v_add_f32_e32 v107, v107, v141
	v_add_f32_e32 v111, v113, v111
	;; [unrolled: 1-line block ×3, first 2 shown]
	s_delay_alu instid0(VALU_DEP_4)
	v_dual_sub_f32 v67, v154, v67 :: v_dual_add_f32 v132, v132, v133
	v_mul_f32_e32 v133, 0x3df6dbef, v43
	v_add_f32_e32 v99, v99, v100
	v_mul_f32_e32 v144, 0xbf3f9e67, v40
	v_add_f32_e32 v55, v55, v8
	v_sub_f32_e32 v49, v138, v49
	v_add_f32_e32 v51, v51, v9
	v_dual_add_f32 v99, v132, v99 :: v_dual_mul_f32 v100, 0x3f116cb1, v41
	v_dual_mul_f32 v132, 0xbf788fa5, v46 :: v_dual_add_f32 v119, v119, v144
	s_delay_alu instid0(VALU_DEP_2) | instskip(NEXT) | instid1(VALU_DEP_3)
	v_dual_mul_f32 v134, 0x3df6dbef, v41 :: v_dual_add_f32 v99, v129, v99
	v_sub_f32_e32 v100, v100, v128
	s_delay_alu instid0(VALU_DEP_3) | instskip(NEXT) | instid1(VALU_DEP_4)
	v_dual_mul_f32 v128, 0xbf788fa5, v41 :: v_dual_sub_f32 v127, v132, v127
	v_add_f32_e32 v117, v119, v117
	s_delay_alu instid0(VALU_DEP_3) | instskip(SKIP_1) | instid1(VALU_DEP_3)
	v_dual_mul_f32 v119, 0xbf3f9e67, v47 :: v_dual_add_f32 v100, v100, v124
	v_mul_f32_e32 v124, 0xbeb58ec6, v61
	v_dual_mul_f32 v144, 0xbeb58ec6, v46 :: v_dual_add_f32 v117, v120, v117
	v_mul_f32_e32 v129, 0xbeb58ec6, v43
	v_mul_f32_e32 v120, 0x3df6dbef, v46
	s_delay_alu instid0(VALU_DEP_4) | instskip(SKIP_1) | instid1(VALU_DEP_4)
	v_add_f32_e32 v124, v130, v124
	v_dual_mul_f32 v130, 0x3f62ad3f, v53 :: v_dual_add_f32 v49, v49, v8
	v_dual_add_f32 v102, v102, v129 :: v_dual_mul_f32 v129, 0xbf3f9e67, v60
	v_sub_f32_e32 v56, v151, v56
	s_delay_alu instid0(VALU_DEP_3) | instskip(SKIP_4) | instid1(VALU_DEP_4)
	v_sub_f32_e32 v126, v130, v126
	v_mul_f32_e32 v130, 0xbeb58ec6, v60
	v_dual_add_f32 v100, v127, v100 :: v_dual_mul_f32 v127, 0x3f62ad3f, v41
	v_mul_f32_e32 v113, 0x3f116cb1, v53
	v_add_f32_e32 v59, v59, v146
	v_sub_f32_e32 v125, v130, v125
	s_delay_alu instid0(VALU_DEP_4) | instskip(SKIP_3) | instid1(VALU_DEP_4)
	v_add_f32_e32 v126, v126, v100
	v_mul_f32_e32 v132, 0xbeb58ec6, v41
	v_add_f32_e32 v100, v124, v99
	v_mul_f32_e32 v130, 0xbf3f9e67, v46
	v_dual_sub_f32 v108, v127, v108 :: v_dual_add_f32 v99, v125, v126
	v_mul_f32_e32 v125, 0x3df6dbef, v47
	v_mul_f32_e32 v126, 0xbf3f9e67, v53
	s_delay_alu instid0(VALU_DEP_3) | instskip(NEXT) | instid1(VALU_DEP_3)
	v_dual_mul_f32 v127, 0xbf788fa5, v53 :: v_dual_add_f32 v108, v108, v111
	v_dual_add_f32 v55, v67, v55 :: v_dual_add_f32 v116, v116, v125
	s_delay_alu instid0(VALU_DEP_2) | instskip(SKIP_3) | instid1(VALU_DEP_4)
	v_dual_mul_f32 v125, 0xbf788fa5, v54 :: v_dual_sub_f32 v112, v127, v112
	v_mul_f32_e32 v127, 0x3f116cb1, v61
	v_sub_f32_e32 v67, v132, v70
	v_add_f32_e32 v49, v56, v49
	v_dual_add_f32 v118, v118, v125 :: v_dual_mul_f32 v125, 0x3df6dbef, v54
	v_add_f32_e32 v116, v116, v117
	v_mul_f32_e32 v117, 0x3df6dbef, v53
	v_dual_mul_f32 v124, 0x3f62ad3f, v47 :: v_dual_sub_f32 v109, v120, v109
	v_add_f32_e32 v62, v62, v9
	s_delay_alu instid0(VALU_DEP_4) | instskip(NEXT) | instid1(VALU_DEP_3)
	v_add_f32_e32 v116, v118, v116
	v_dual_sub_f32 v56, v128, v63 :: v_dual_add_f32 v101, v101, v124
	s_delay_alu instid0(VALU_DEP_3) | instskip(SKIP_1) | instid1(VALU_DEP_3)
	v_dual_mul_f32 v111, 0xbf788fa5, v61 :: v_dual_add_f32 v62, v103, v62
	v_dual_add_f32 v108, v109, v108 :: v_dual_mul_f32 v109, 0xbf3f9e67, v61
	v_dual_add_f32 v49, v56, v49 :: v_dual_sub_f32 v56, v130, v68
	s_delay_alu instid0(VALU_DEP_3) | instskip(SKIP_1) | instid1(VALU_DEP_4)
	v_add_f32_e32 v62, v102, v62
	v_mul_f32_e32 v102, 0x3f116cb1, v60
	v_dual_add_f32 v108, v112, v108 :: v_dual_add_f32 v105, v105, v109
	v_dual_add_f32 v55, v67, v55 :: v_dual_sub_f32 v42, v136, v42
	s_delay_alu instid0(VALU_DEP_3) | instskip(SKIP_3) | instid1(VALU_DEP_4)
	v_sub_f32_e32 v112, v102, v115
	v_add_f32_e32 v62, v101, v62
	v_dual_add_f32 v118, v122, v127 :: v_dual_add_f32 v49, v56, v49
	v_dual_mul_f32 v120, 0x3f62ad3f, v60 :: v_dual_mul_f32 v103, 0x3f62ad3f, v61
	v_add_f32_e32 v101, v112, v108
	s_delay_alu instid0(VALU_DEP_3) | instskip(SKIP_4) | instid1(VALU_DEP_4)
	v_add_f32_e32 v102, v118, v116
	v_add_f32_e32 v62, v107, v62
	;; [unrolled: 1-line block ×4, first 2 shown]
	v_dual_sub_f32 v65, v143, v74 :: v_dual_add_f32 v48, v48, v149
	v_add_f32_e32 v56, v105, v62
	s_delay_alu instid0(VALU_DEP_3) | instskip(SKIP_1) | instid1(VALU_DEP_4)
	v_dual_add_f32 v62, v44, v137 :: v_dual_add_f32 v51, v59, v51
	v_dual_add_f32 v42, v42, v8 :: v_dual_add_f32 v59, v71, v119
	;; [unrolled: 1-line block ×3, first 2 shown]
	v_fmac_f32_e32 v78, 0xbf788fa5, v37
	s_delay_alu instid0(VALU_DEP_3) | instskip(NEXT) | instid1(VALU_DEP_3)
	v_dual_add_f32 v42, v45, v42 :: v_dual_add_f32 v51, v59, v51
	v_dual_add_f32 v59, v75, v125 :: v_dual_add_f32 v10, v28, v10
	v_dual_add_f32 v28, v58, v155 :: v_dual_add_f32 v11, v11, v9
	s_delay_alu instid0(VALU_DEP_2) | instskip(SKIP_2) | instid1(VALU_DEP_4)
	v_dual_add_f32 v8, v78, v8 :: v_dual_add_f32 v51, v59, v51
	v_add_f32_e32 v59, v93, v103
	v_fmac_f32_e32 v152, 0x3f62ad3f, v39
	v_add_f32_e32 v11, v29, v11
	v_sub_f32_e32 v45, v134, v50
	v_add_f32_e32 v10, v30, v10
	v_add_f32_e32 v44, v59, v51
	;; [unrolled: 1-line block ×3, first 2 shown]
	v_sub_f32_e32 v59, v120, v76
	v_add_f32_e32 v51, v62, v9
	v_sub_f32_e32 v63, v113, v77
	s_delay_alu instid0(VALU_DEP_4) | instskip(SKIP_1) | instid1(VALU_DEP_4)
	v_dual_add_f32 v29, v52, v133 :: v_dual_add_f32 v8, v153, v8
	v_dual_add_f32 v11, v31, v11 :: v_dual_fmac_f32 v104, 0x3f116cb1, v46
	v_dual_add_f32 v48, v48, v51 :: v_dual_add_f32 v31, v45, v42
	s_delay_alu instid0(VALU_DEP_2) | instskip(NEXT) | instid1(VALU_DEP_3)
	v_dual_add_f32 v10, v24, v10 :: v_dual_add_f32 v11, v25, v11
	v_add_f32_e32 v8, v104, v8
	s_delay_alu instid0(VALU_DEP_3) | instskip(SKIP_4) | instid1(VALU_DEP_2)
	v_dual_add_f32 v29, v29, v48 :: v_dual_fmac_f32 v110, 0xbeb58ec6, v53
	v_add_f32_e32 v55, v63, v55
	v_sub_f32_e32 v63, v129, v96
	v_dual_sub_f32 v25, v144, v57 :: v_dual_sub_f32 v24, v126, v64
	v_dual_add_f32 v10, v26, v10 :: v_dual_sub_f32 v65, v117, v73
	v_dual_add_f32 v28, v28, v29 :: v_dual_add_f32 v25, v25, v31
	s_delay_alu instid0(VALU_DEP_2) | instskip(NEXT) | instid1(VALU_DEP_2)
	v_dual_add_f32 v55, v63, v55 :: v_dual_add_f32 v20, v20, v10
	v_dual_add_f32 v11, v27, v11 :: v_dual_add_f32 v24, v24, v25
	s_delay_alu instid0(VALU_DEP_2) | instskip(NEXT) | instid1(VALU_DEP_1)
	v_dual_sub_f32 v25, v135, v69 :: v_dual_add_f32 v20, v22, v20
	v_add_f32_e32 v10, v25, v24
	s_delay_alu instid0(VALU_DEP_2) | instskip(NEXT) | instid1(VALU_DEP_1)
	v_dual_add_f32 v49, v65, v49 :: v_dual_add_f32 v16, v16, v20
	v_add_f32_e32 v16, v18, v16
	s_delay_alu instid0(VALU_DEP_1) | instskip(SKIP_1) | instid1(VALU_DEP_2)
	v_add_f32_e32 v12, v12, v16
	v_fma_f32 v16, 0xbeb58ec6, v54, -v114
	v_add_f32_e32 v12, v14, v12
	v_add_f32_e32 v29, v66, v142
	v_dual_add_f32 v11, v21, v11 :: v_dual_and_b32 v14, 0xffff, v94
	v_add_f32_e32 v21, v72, v111
	s_delay_alu instid0(VALU_DEP_2) | instskip(NEXT) | instid1(VALU_DEP_3)
	v_dual_add_f32 v27, v29, v28 :: v_dual_lshlrev_b32 v14, 3, v14
	v_add_f32_e32 v23, v23, v11
	s_delay_alu instid0(VALU_DEP_2) | instskip(SKIP_1) | instid1(VALU_DEP_3)
	v_add_f32_e32 v11, v21, v27
	v_fma_f32 v21, 0xbf788fa5, v38, -v95
	v_add_f32_e32 v17, v17, v23
	s_delay_alu instid0(VALU_DEP_2) | instskip(SKIP_1) | instid1(VALU_DEP_3)
	v_add_f32_e32 v9, v21, v9
	v_fma_f32 v21, 0x3f62ad3f, v40, -v147
	v_add_f32_e32 v17, v19, v17
	v_fma_f32 v19, 0xbf3f9e67, v43, -v150
	v_add_f32_e32 v43, v59, v49
	s_delay_alu instid0(VALU_DEP_4) | instskip(NEXT) | instid1(VALU_DEP_4)
	v_add_f32_e32 v9, v21, v9
	v_add_f32_e32 v13, v13, v17
	v_fma_f32 v17, 0x3f116cb1, v47, -v106
	s_delay_alu instid0(VALU_DEP_3) | instskip(NEXT) | instid1(VALU_DEP_3)
	v_add_f32_e32 v9, v19, v9
	v_add_f32_e32 v13, v15, v13
	s_delay_alu instid0(VALU_DEP_2) | instskip(NEXT) | instid1(VALU_DEP_2)
	v_add_f32_e32 v15, v17, v9
	v_add_f32_e32 v9, v36, v13
	s_delay_alu instid0(VALU_DEP_2) | instskip(SKIP_3) | instid1(VALU_DEP_2)
	v_add_f32_e32 v13, v16, v15
	v_fma_f32 v15, 0x3df6dbef, v61, -v123
	v_add_f32_e32 v16, v110, v8
	v_add_f32_e32 v8, v35, v12
	v_dual_add_f32 v13, v15, v13 :: v_dual_add_f32 v12, v121, v16
	ds_store_2addr_b64 v14, v[8:9], v[10:11] offset1:1
	ds_store_2addr_b64 v14, v[43:44], v[55:56] offset0:2 offset1:3
	ds_store_2addr_b64 v14, v[101:102], v[99:100] offset0:4 offset1:5
	;; [unrolled: 1-line block ×5, first 2 shown]
	ds_store_b64 v14, v[33:34] offset:96
.LBB0_7:
	s_or_b32 exec_lo, exec_lo, s0
	v_and_b32_e32 v8, 0xff, v79
	v_add_co_u32 v26, null, 0xd0, v79
	v_add_nc_u32_e32 v17, 0x1a0, v79
	v_add_nc_u32_e32 v16, 0x270, v79
	s_delay_alu instid0(VALU_DEP_4) | instskip(NEXT) | instid1(VALU_DEP_4)
	v_mul_lo_u16 v27, 0x4f, v8
	v_and_b32_e32 v8, 0xffff, v26
	s_load_b128 s[4:7], s[4:5], 0x0
	v_and_b32_e32 v9, 0xffff, v17
	v_and_b32_e32 v10, 0xffff, v16
	v_lshrrev_b16 v28, 10, v27
	v_mul_u32_u24_e32 v29, 0x4ec5, v8
	s_waitcnt lgkmcnt(0)
	v_mul_u32_u24_e32 v30, 0x4ec5, v9
	v_mul_u32_u24_e32 v31, 0x4ec5, v10
	v_mul_lo_u16 v8, v28, 13
	v_lshrrev_b32_e32 v43, 18, v29
	s_barrier
	v_lshrrev_b32_e32 v44, 18, v30
	v_lshrrev_b32_e32 v45, 18, v31
	v_sub_nc_u16 v8, v79, v8
	v_mul_lo_u16 v9, v43, 13
	buffer_gl0_inv
	v_mul_lo_u16 v10, v44, 13
	v_lshrrev_b32_e32 v53, 19, v30
	v_and_b32_e32 v46, 0xff, v8
	v_sub_nc_u16 v47, v26, v9
	v_mul_lo_u16 v8, v45, 13
	v_sub_nc_u16 v48, v17, v10
	v_and_b32_e32 v28, 0xffff, v28
	v_lshlrev_b32_e32 v9, 3, v46
	v_mul_lo_u16 v56, v53, 26
	v_sub_nc_u16 v49, v16, v8
	v_and_b32_e32 v8, 0xffff, v47
	v_and_b32_e32 v10, 0xffff, v48
	global_load_b64 v[35:36], v9, s[2:3]
	v_mul_u32_u24_e32 v28, 26, v28
	v_and_b32_e32 v9, 0xffff, v49
	v_lshlrev_b32_e32 v8, 3, v8
	v_lshlrev_b32_e32 v10, 3, v10
	v_lshrrev_b16 v51, 11, v27
	v_add_lshl_u32 v95, v28, v46, 3
	v_lshlrev_b32_e32 v9, 3, v9
	s_clause 0x2
	global_load_b64 v[41:42], v8, s[2:3]
	global_load_b64 v[39:40], v10, s[2:3]
	;; [unrolled: 1-line block ×3, first 2 shown]
	v_and_b32_e32 v8, 0xffff, v79
	v_mad_u16 v28, v43, 26, v47
	v_mad_u16 v43, v44, 26, v48
	v_mul_lo_u16 v50, v51, 26
	v_mad_u16 v44, v45, 26, v49
	v_lshlrev_b32_e32 v93, 3, v8
	v_and_b32_e32 v28, 0xffff, v28
	v_lshrrev_b32_e32 v54, 19, v31
	v_sub_nc_u16 v50, v79, v50
	v_and_b32_e32 v44, 0xffff, v44
	v_add_nc_u32_e32 v75, 0x1a00, v93
	v_add_nc_u32_e32 v73, 0xc00, v93
	;; [unrolled: 1-line block ×3, first 2 shown]
	ds_load_2addr_b64 v[8:11], v93 offset1:208
	ds_load_2addr_b64 v[12:15], v75 offset1:208
	ds_load_2addr_b64 v[18:21], v73 offset0:32 offset1:240
	ds_load_2addr_b64 v[22:25], v74 offset0:32 offset1:240
	v_and_b32_e32 v58, 0xff, v50
	v_lshlrev_b32_e32 v98, 3, v28
	v_mul_lo_u16 v57, v54, 26
	v_lshlrev_b32_e32 v96, 3, v44
	v_lshrrev_b32_e32 v52, 19, v29
	s_waitcnt vmcnt(0) lgkmcnt(0)
	s_barrier
	buffer_gl0_inv
	v_mul_lo_u16 v55, v52, 26
	s_delay_alu instid0(VALU_DEP_1) | instskip(NEXT) | instid1(VALU_DEP_1)
	v_sub_nc_u16 v55, v26, v55
	v_and_b32_e32 v46, 0xffff, v55
	s_delay_alu instid0(VALU_DEP_1) | instskip(SKIP_2) | instid1(VALU_DEP_1)
	v_lshlrev_b32_e32 v46, 3, v46
	v_mul_f32_e32 v48, v12, v36
	v_sub_nc_u16 v56, v17, v56
	v_dual_fmac_f32 v48, v13, v35 :: v_dual_and_b32 v47, 0xffff, v56
	v_mul_f32_e32 v28, v14, v42
	v_mul_f32_e32 v44, v22, v40
	s_delay_alu instid0(VALU_DEP_3)
	v_dual_mul_f32 v50, v24, v38 :: v_dual_lshlrev_b32 v59, 3, v47
	v_mul_f32_e32 v47, v13, v36
	v_mul_f32_e32 v13, v15, v42
	v_fmac_f32_e32 v28, v15, v41
	v_sub_nc_u16 v57, v16, v57
	v_fmac_f32_e32 v44, v23, v39
	v_fma_f32 v12, v12, v35, -v47
	v_mul_f32_e32 v47, v25, v38
	v_fma_f32 v14, v14, v41, -v13
	v_dual_fmac_f32 v50, v25, v37 :: v_dual_lshlrev_b32 v45, 3, v58
	s_delay_alu instid0(VALU_DEP_4) | instskip(NEXT) | instid1(VALU_DEP_4)
	v_sub_f32_e32 v12, v8, v12
	v_fma_f32 v24, v24, v37, -v47
	v_and_b32_e32 v43, 0xffff, v43
	v_dual_sub_f32 v13, v9, v48 :: v_dual_sub_f32 v14, v10, v14
	v_sub_f32_e32 v15, v11, v28
	s_delay_alu instid0(VALU_DEP_3)
	v_dual_sub_f32 v24, v20, v24 :: v_dual_lshlrev_b32 v97, 3, v43
	v_mul_f32_e32 v43, v23, v40
	v_sub_f32_e32 v23, v19, v44
	v_sub_f32_e32 v25, v21, v50
	v_fma_f32 v8, v8, 2.0, -v12
	v_fma_f32 v9, v9, 2.0, -v13
	v_fma_f32 v22, v22, v39, -v43
	v_and_b32_e32 v49, 0xffff, v57
	v_fma_f32 v10, v10, 2.0, -v14
	v_fma_f32 v11, v11, 2.0, -v15
	;; [unrolled: 1-line block ×3, first 2 shown]
	v_sub_f32_e32 v22, v18, v22
	v_fma_f32 v20, v20, 2.0, -v24
	v_fma_f32 v21, v21, 2.0, -v25
	v_lshrrev_b16 v28, 12, v27
	s_delay_alu instid0(VALU_DEP_4)
	v_fma_f32 v18, v18, 2.0, -v22
	ds_store_2addr_b64 v95, v[8:9], v[12:13] offset1:13
	ds_store_2addr_b64 v98, v[10:11], v[14:15] offset1:13
	;; [unrolled: 1-line block ×4, first 2 shown]
	s_waitcnt lgkmcnt(0)
	s_barrier
	buffer_gl0_inv
	global_load_b64 v[47:48], v45, s[2:3] offset:104
	v_lshlrev_b32_e32 v8, 3, v49
	s_clause 0x2
	global_load_b64 v[49:50], v46, s[2:3] offset:104
	global_load_b64 v[45:46], v59, s[2:3] offset:104
	;; [unrolled: 1-line block ×3, first 2 shown]
	v_mul_lo_u16 v8, v28, 52
	v_lshrrev_b32_e32 v59, 20, v29
	v_and_b32_e32 v9, 0xffff, v51
	v_mad_u16 v19, v52, 52, v55
	v_mad_u16 v20, v53, 52, v56
	v_sub_nc_u16 v8, v79, v8
	v_mul_lo_u16 v10, v59, 52
	v_mul_u32_u24_e32 v18, 52, v9
	v_mad_u16 v21, v54, 52, v57
	v_and_b32_e32 v20, 0xffff, v20
	v_and_b32_e32 v60, 0xff, v8
	v_sub_nc_u16 v61, v26, v10
	ds_load_2addr_b64 v[8:11], v75 offset1:208
	v_mad_u64_u32 v[26:27], null, v60, 24, s[2:3]
	s_waitcnt vmcnt(3) lgkmcnt(0)
	v_mul_f32_e32 v51, v9, v48
	ds_load_2addr_b64 v[12:15], v74 offset0:32 offset1:240
	v_dual_mul_f32 v52, v8, v48 :: v_dual_and_b32 v19, 0xffff, v19
	s_waitcnt vmcnt(2)
	v_dual_mul_f32 v54, v10, v50 :: v_dual_and_b32 v21, 0xffff, v21
	v_mul_f32_e32 v53, v11, v50
	v_fma_f32 v8, v8, v47, -v51
	v_fmac_f32_e32 v52, v9, v47
	s_delay_alu instid0(VALU_DEP_4)
	v_lshlrev_b32_e32 v100, 3, v21
	v_fmac_f32_e32 v54, v11, v49
	v_fma_f32 v10, v10, v49, -v53
	s_waitcnt vmcnt(0) lgkmcnt(0)
	v_mul_f32_e32 v57, v15, v44
	v_add_lshl_u32 v102, v18, v58, 3
	v_mul_lo_u16 v18, v61, 24
	v_mul_f32_e32 v56, v12, v46
	v_dual_mul_f32 v58, v14, v44 :: v_dual_lshlrev_b32 v103, 3, v19
	v_lshlrev_b32_e32 v101, 3, v20
	s_delay_alu instid0(VALU_DEP_4)
	v_and_b32_e32 v29, 0xffff, v18
	ds_load_2addr_b64 v[18:21], v93 offset1:208
	ds_load_2addr_b64 v[22:25], v73 offset0:32 offset1:240
	v_mul_f32_e32 v55, v13, v46
	v_fmac_f32_e32 v56, v13, v45
	v_fma_f32 v14, v14, v43, -v57
	v_fmac_f32_e32 v58, v15, v43
	s_waitcnt lgkmcnt(0)
	v_fma_f32 v12, v12, v45, -v55
	v_and_b32_e32 v55, 0xffff, v28
	s_barrier
	buffer_gl0_inv
	v_mul_u32_u24_e32 v55, 0xd0, v55
	v_sub_f32_e32 v8, v18, v8
	v_dual_sub_f32 v9, v19, v52 :: v_dual_sub_f32 v10, v20, v10
	v_dual_sub_f32 v11, v21, v54 :: v_dual_sub_f32 v12, v22, v12
	;; [unrolled: 1-line block ×3, first 2 shown]
	v_sub_f32_e32 v15, v25, v58
	v_fma_f32 v18, v18, 2.0, -v8
	v_fma_f32 v19, v19, 2.0, -v9
	;; [unrolled: 1-line block ×8, first 2 shown]
	ds_store_2addr_b64 v102, v[18:19], v[8:9] offset1:26
	ds_store_2addr_b64 v103, v[20:21], v[10:11] offset1:26
	;; [unrolled: 1-line block ×4, first 2 shown]
	v_add_co_u32 v18, s0, s2, v29
	s_delay_alu instid0(VALU_DEP_1)
	v_add_co_ci_u32_e64 v19, null, s3, 0, s0
	s_waitcnt lgkmcnt(0)
	s_barrier
	buffer_gl0_inv
	s_clause 0x3
	global_load_b128 v[12:15], v[26:27], off offset:312
	global_load_b64 v[53:54], v[26:27], off offset:328
	global_load_b128 v[8:11], v[18:19], off offset:312
	global_load_b64 v[51:52], v[18:19], off offset:328
	ds_load_2addr_b64 v[18:21], v73 offset0:32 offset1:240
	v_lshrrev_b32_e32 v22, 22, v30
	ds_load_2addr_b64 v[26:29], v74 offset0:32 offset1:240
	v_lshrrev_b32_e32 v30, 22, v31
	v_mul_lo_u16 v31, 0xd0, v22
	ds_load_2addr_b64 v[22:25], v75 offset1:208
	v_mul_lo_u16 v30, 0xd0, v30
	v_sub_nc_u16 v17, v17, v31
	v_mad_u16 v31, 0xd0, v59, v61
	s_delay_alu instid0(VALU_DEP_3) | instskip(SKIP_1) | instid1(VALU_DEP_4)
	v_sub_nc_u16 v16, v16, v30
	v_lshlrev_b32_e32 v61, 3, v79
	v_and_b32_e32 v17, 0xffff, v17
	s_delay_alu instid0(VALU_DEP_1)
	v_lshlrev_b32_e32 v99, 3, v17
	s_waitcnt vmcnt(2) lgkmcnt(1)
	v_mul_f32_e32 v59, v27, v54
	s_waitcnt vmcnt(1)
	v_mul_f32_e32 v63, v21, v9
	v_add_lshl_u32 v106, v55, v60, 3
	ds_load_2addr_b64 v[55:58], v93 offset1:208
	v_dual_mul_f32 v17, v18, v13 :: v_dual_and_b32 v30, 0xffff, v31
	v_mul_f32_e32 v60, v26, v54
	v_and_b32_e32 v62, 0xffff, v16
	v_mul_f32_e32 v16, v19, v13
	s_delay_alu instid0(VALU_DEP_4) | instskip(NEXT) | instid1(VALU_DEP_4)
	v_fmac_f32_e32 v17, v19, v12
	v_dual_fmac_f32 v60, v27, v53 :: v_dual_lshlrev_b32 v105, 3, v30
	s_waitcnt lgkmcnt(1)
	v_mul_f32_e32 v30, v23, v15
	v_mul_f32_e32 v31, v22, v15
	v_fma_f32 v16, v18, v12, -v16
	v_fma_f32 v19, v26, v53, -v59
	v_mul_f32_e32 v65, v25, v11
	v_fma_f32 v18, v22, v14, -v30
	v_fmac_f32_e32 v31, v23, v14
	s_waitcnt vmcnt(0)
	v_mul_f32_e32 v67, v29, v52
	v_mul_f32_e32 v68, v28, v52
	s_waitcnt lgkmcnt(0)
	s_barrier
	v_dual_sub_f32 v23, v55, v18 :: v_dual_sub_f32 v18, v16, v19
	v_dual_sub_f32 v19, v17, v60 :: v_dual_lshlrev_b32 v104, 3, v62
	v_fma_f32 v22, v28, v51, -v67
	v_fmac_f32_e32 v68, v29, v51
	s_delay_alu instid0(VALU_DEP_4) | instskip(NEXT) | instid1(VALU_DEP_4)
	v_fma_f32 v28, v55, 2.0, -v23
	v_fma_f32 v30, v17, 2.0, -v19
	v_mul_f32_e32 v66, v24, v11
	buffer_gl0_inv
	v_add_co_u32 v67, s0, s2, v61
	v_fmac_f32_e32 v66, v25, v10
	v_mul_f32_e32 v64, v20, v9
	v_fma_f32 v20, v20, v8, -v63
	v_add_nc_u32_e32 v63, 0x2600, v104
	v_fma_f32 v25, v16, 2.0, -v18
	s_delay_alu instid0(VALU_DEP_4) | instskip(SKIP_3) | instid1(VALU_DEP_4)
	v_dual_sub_f32 v27, v58, v66 :: v_dual_fmac_f32 v64, v21, v8
	v_fma_f32 v21, v24, v10, -v65
	v_sub_f32_e32 v24, v56, v31
	v_sub_f32_e32 v16, v23, v19
	v_fma_f32 v55, v58, 2.0, -v27
	s_delay_alu instid0(VALU_DEP_4) | instskip(NEXT) | instid1(VALU_DEP_4)
	v_dual_sub_f32 v26, v57, v21 :: v_dual_sub_f32 v21, v20, v22
	v_add_f32_e32 v17, v24, v18
	v_sub_f32_e32 v22, v64, v68
	v_fma_f32 v29, v56, 2.0, -v24
	s_delay_alu instid0(VALU_DEP_4)
	v_fma_f32 v31, v57, 2.0, -v26
	v_fma_f32 v56, v20, 2.0, -v21
	v_add_f32_e32 v19, v27, v21
	v_fma_f32 v57, v64, 2.0, -v22
	v_dual_sub_f32 v20, v28, v25 :: v_dual_sub_f32 v21, v29, v30
	v_sub_f32_e32 v18, v26, v22
	v_fma_f32 v22, v23, 2.0, -v16
	v_fma_f32 v23, v24, 2.0, -v17
	v_sub_f32_e32 v24, v31, v56
	v_sub_f32_e32 v25, v55, v57
	v_fma_f32 v28, v28, 2.0, -v20
	v_fma_f32 v29, v29, 2.0, -v21
	;; [unrolled: 1-line block ×6, first 2 shown]
	ds_store_2addr_b64 v106, v[20:21], v[16:17] offset0:104 offset1:156
	ds_store_2addr_b64 v106, v[28:29], v[22:23] offset1:52
	ds_store_2addr_b64 v105, v[30:31], v[26:27] offset1:52
	ds_store_2addr_b64 v105, v[24:25], v[18:19] offset0:104 offset1:156
	s_waitcnt lgkmcnt(0)
	s_barrier
	buffer_gl0_inv
	s_clause 0x2
	global_load_b64 v[59:60], v61, s[2:3] offset:1560
	global_load_b64 v[57:58], v99, s[2:3] offset:1560
	global_load_b64 v[55:56], v104, s[2:3] offset:1560
	ds_load_2addr_b64 v[16:19], v75 offset1:208
	ds_load_2addr_b64 v[20:23], v74 offset0:32 offset1:240
	ds_load_2addr_b64 v[24:27], v93 offset1:208
	ds_load_2addr_b64 v[28:31], v73 offset0:32 offset1:240
	v_add_co_ci_u32_e64 v68, null, s3, 0, s0
	v_add_co_u32 v65, s0, 0x1000, v67
	s_waitcnt vmcnt(0) lgkmcnt(0)
	s_delay_alu instid0(VALU_DEP_2)
	v_add_co_ci_u32_e64 v66, s0, 0, v68, s0
	s_barrier
	buffer_gl0_inv
	v_mul_f32_e32 v72, v21, v58
	v_mul_f32_e32 v64, v17, v60
	;; [unrolled: 1-line block ×4, first 2 shown]
	v_dual_mul_f32 v71, v18, v60 :: v_dual_mul_f32 v76, v20, v58
	v_mul_f32_e32 v77, v23, v56
	v_mul_f32_e32 v78, v22, v56
	v_fma_f32 v16, v16, v59, -v64
	v_fmac_f32_e32 v69, v17, v59
	v_fma_f32 v18, v18, v59, -v70
	v_fmac_f32_e32 v71, v19, v59
	v_fma_f32 v20, v20, v57, -v72
	v_fmac_f32_e32 v76, v21, v57
	v_fma_f32 v22, v22, v55, -v77
	v_fmac_f32_e32 v78, v23, v55
	v_dual_sub_f32 v16, v24, v16 :: v_dual_sub_f32 v17, v25, v69
	v_dual_sub_f32 v18, v26, v18 :: v_dual_sub_f32 v19, v27, v71
	v_sub_f32_e32 v20, v28, v20
	v_dual_sub_f32 v21, v29, v76 :: v_dual_add_nc_u32 v62, 0x1a00, v99
	v_sub_f32_e32 v23, v31, v78
	v_sub_f32_e32 v22, v30, v22
	v_fma_f32 v24, v24, 2.0, -v16
	v_fma_f32 v25, v25, 2.0, -v17
	;; [unrolled: 1-line block ×8, first 2 shown]
	ds_store_2addr_b64 v93, v[24:25], v[16:17] offset1:208
	ds_store_2addr_b64 v73, v[26:27], v[18:19] offset0:32 offset1:240
	ds_store_2addr_b64 v62, v[28:29], v[20:21] offset1:208
	ds_store_2addr_b64 v63, v[30:31], v[22:23] offset0:32 offset1:240
	s_waitcnt lgkmcnt(0)
	s_barrier
	buffer_gl0_inv
	s_clause 0x1
	global_load_b64 v[63:64], v61, s[2:3] offset:3224
	global_load_b64 v[61:62], v[65:66], off offset:792
	ds_load_2addr_b64 v[16:19], v75 offset1:208
	ds_load_2addr_b64 v[20:23], v74 offset0:32 offset1:240
	ds_load_2addr_b64 v[24:27], v93 offset1:208
	ds_load_2addr_b64 v[28:31], v73 offset0:32 offset1:240
	v_add_co_u32 v76, s0, 0x2000, v67
	s_delay_alu instid0(VALU_DEP_1)
	v_add_co_ci_u32_e64 v77, s0, 0, v68, s0
	s_waitcnt vmcnt(0) lgkmcnt(0)
	s_barrier
	buffer_gl0_inv
	v_mul_f32_e32 v67, v17, v64
	v_dual_mul_f32 v68, v16, v64 :: v_dual_mul_f32 v69, v19, v62
	v_dual_mul_f32 v70, v18, v62 :: v_dual_mul_f32 v71, v21, v64
	v_mul_f32_e32 v72, v20, v64
	v_mul_f32_e32 v78, v23, v62
	;; [unrolled: 1-line block ×3, first 2 shown]
	v_fma_f32 v16, v16, v63, -v67
	v_fmac_f32_e32 v68, v17, v63
	v_fma_f32 v18, v18, v61, -v69
	v_fmac_f32_e32 v70, v19, v61
	;; [unrolled: 2-line block ×3, first 2 shown]
	v_fma_f32 v22, v22, v61, -v78
	v_dual_fmac_f32 v107, v23, v61 :: v_dual_sub_f32 v16, v24, v16
	v_dual_sub_f32 v17, v25, v68 :: v_dual_sub_f32 v18, v26, v18
	v_dual_sub_f32 v19, v27, v70 :: v_dual_sub_f32 v20, v28, v20
	s_delay_alu instid0(VALU_DEP_4) | instskip(NEXT) | instid1(VALU_DEP_4)
	v_dual_sub_f32 v21, v29, v72 :: v_dual_sub_f32 v22, v30, v22
	v_sub_f32_e32 v23, v31, v107
	v_fma_f32 v24, v24, 2.0, -v16
	v_fma_f32 v25, v25, 2.0, -v17
	;; [unrolled: 1-line block ×8, first 2 shown]
	ds_store_2addr_b64 v73, v[16:17], v[18:19] offset0:32 offset1:240
	ds_store_2addr_b64 v74, v[20:21], v[22:23] offset0:32 offset1:240
	ds_store_2addr_b64 v93, v[24:25], v[26:27] offset1:208
	ds_store_2addr_b64 v75, v[28:29], v[30:31] offset1:208
	s_waitcnt lgkmcnt(0)
	s_barrier
	buffer_gl0_inv
	s_clause 0x3
	global_load_b64 v[69:70], v[65:66], off offset:2456
	global_load_b64 v[67:68], v[76:77], off offset:24
	;; [unrolled: 1-line block ×4, first 2 shown]
	ds_load_2addr_b64 v[16:19], v75 offset1:208
	ds_load_2addr_b64 v[20:23], v74 offset0:32 offset1:240
	ds_load_2addr_b64 v[107:110], v93 offset1:208
	ds_load_2addr_b64 v[111:114], v73 offset0:32 offset1:240
	s_waitcnt vmcnt(3) lgkmcnt(3)
	v_mul_f32_e32 v24, v17, v70
	s_waitcnt vmcnt(2)
	v_dual_mul_f32 v25, v16, v70 :: v_dual_mul_f32 v26, v19, v68
	v_mul_f32_e32 v27, v18, v68
	s_waitcnt vmcnt(1) lgkmcnt(2)
	v_mul_f32_e32 v28, v21, v72
	s_waitcnt vmcnt(0)
	v_dual_mul_f32 v29, v20, v72 :: v_dual_mul_f32 v30, v23, v66
	v_mul_f32_e32 v31, v22, v66
	v_fma_f32 v16, v16, v69, -v24
	v_fmac_f32_e32 v25, v17, v69
	v_fma_f32 v17, v18, v67, -v26
	v_fmac_f32_e32 v27, v19, v67
	;; [unrolled: 2-line block ×4, first 2 shown]
	s_waitcnt lgkmcnt(1)
	v_dual_sub_f32 v18, v107, v16 :: v_dual_sub_f32 v19, v108, v25
	v_dual_sub_f32 v22, v109, v17 :: v_dual_sub_f32 v23, v110, v27
	s_waitcnt lgkmcnt(0)
	v_dual_sub_f32 v27, v112, v29 :: v_dual_sub_f32 v26, v111, v20
	v_dual_sub_f32 v30, v113, v21 :: v_dual_sub_f32 v31, v114, v31
	v_fma_f32 v16, v107, 2.0, -v18
	v_fma_f32 v17, v108, 2.0, -v19
	;; [unrolled: 1-line block ×8, first 2 shown]
	ds_store_2addr_b64 v75, v[18:19], v[22:23] offset1:208
	ds_store_2addr_b64 v74, v[26:27], v[30:31] offset0:32 offset1:240
	ds_store_2addr_b64 v93, v[16:17], v[20:21] offset1:208
	ds_store_2addr_b64 v73, v[24:25], v[28:29] offset0:32 offset1:240
	s_waitcnt lgkmcnt(0)
	s_barrier
	buffer_gl0_inv
	s_and_saveexec_b32 s2, vcc_lo
	s_cbranch_execz .LBB0_9
; %bb.8:
	s_add_u32 s0, s12, 0x3400
	s_addc_u32 s1, s13, 0
	v_or_b32_e32 v75, 0x1000, v92
	s_clause 0x1
	global_load_b64 v[73:74], v92, s[0:1]
	global_load_b64 v[77:78], v92, s[0:1] offset:1024
	v_or_b32_e32 v76, 0x1400, v92
	v_or_b32_e32 v107, 0x1800, v92
	s_clause 0x4
	global_load_b64 v[127:128], v92, s[0:1] offset:2048
	global_load_b64 v[131:132], v75, s[0:1]
	global_load_b64 v[129:130], v92, s[0:1] offset:3072
	global_load_b64 v[135:136], v107, s[0:1]
	global_load_b64 v[133:134], v76, s[0:1]
	v_or_b32_e32 v75, 0x1c00, v92
	v_or_b32_e32 v76, 0x2000, v92
	;; [unrolled: 1-line block ×3, first 2 shown]
	s_clause 0x2
	global_load_b64 v[137:138], v75, s[0:1]
	global_load_b64 v[141:142], v107, s[0:1]
	;; [unrolled: 1-line block ×3, first 2 shown]
	v_or_b32_e32 v75, 0x2800, v92
	v_or_b32_e32 v76, 0x2c00, v92
	;; [unrolled: 1-line block ×3, first 2 shown]
	s_clause 0x2
	global_load_b64 v[143:144], v75, s[0:1]
	global_load_b64 v[145:146], v76, s[0:1]
	global_load_b64 v[147:148], v107, s[0:1]
	ds_load_b64 v[75:76], v93
	s_waitcnt vmcnt(12) lgkmcnt(0)
	v_mul_f32_e32 v107, v76, v74
	v_mul_f32_e32 v108, v75, v74
	s_delay_alu instid0(VALU_DEP_2) | instskip(NEXT) | instid1(VALU_DEP_2)
	v_fma_f32 v107, v75, v73, -v107
	v_fmac_f32_e32 v108, v76, v73
	ds_store_b64 v93, v[107:108]
	ds_load_2addr_stride64_b64 v[73:76], v92 offset0:2 offset1:4
	ds_load_2addr_stride64_b64 v[107:110], v92 offset0:6 offset1:8
	;; [unrolled: 1-line block ×6, first 2 shown]
	s_waitcnt vmcnt(11) lgkmcnt(5)
	v_mul_f32_e32 v149, v73, v78
	s_waitcnt vmcnt(10)
	v_dual_mul_f32 v150, v74, v78 :: v_dual_mul_f32 v151, v76, v128
	v_mul_f32_e32 v78, v75, v128
	s_waitcnt vmcnt(8) lgkmcnt(4)
	v_dual_mul_f32 v152, v108, v130 :: v_dual_mul_f32 v153, v110, v132
	s_waitcnt vmcnt(7) lgkmcnt(3)
	v_dual_mul_f32 v128, v107, v130 :: v_dual_mul_f32 v155, v114, v136
	v_dual_mul_f32 v130, v109, v132 :: v_dual_fmac_f32 v149, v74, v77
	s_waitcnt vmcnt(3) lgkmcnt(2)
	v_dual_mul_f32 v154, v112, v134 :: v_dual_mul_f32 v157, v118, v140
	s_waitcnt vmcnt(2) lgkmcnt(1)
	v_dual_mul_f32 v132, v111, v134 :: v_dual_mul_f32 v159, v122, v144
	v_mul_f32_e32 v134, v113, v136
	s_waitcnt vmcnt(0) lgkmcnt(0)
	v_dual_mul_f32 v156, v116, v138 :: v_dual_mul_f32 v161, v126, v148
	v_mul_f32_e32 v136, v115, v138
	v_mul_f32_e32 v138, v117, v140
	;; [unrolled: 1-line block ×8, first 2 shown]
	v_fma_f32 v148, v73, v77, -v150
	v_fma_f32 v77, v75, v127, -v151
	v_fmac_f32_e32 v78, v76, v127
	v_fma_f32 v127, v107, v129, -v152
	v_fmac_f32_e32 v128, v108, v129
	;; [unrolled: 2-line block ×11, first 2 shown]
	ds_store_2addr_stride64_b64 v92, v[148:149], v[77:78] offset0:2 offset1:4
	ds_store_2addr_stride64_b64 v92, v[127:128], v[129:130] offset0:6 offset1:8
	;; [unrolled: 1-line block ×6, first 2 shown]
.LBB0_9:
	s_or_b32 exec_lo, exec_lo, s2
	s_waitcnt lgkmcnt(0)
	s_barrier
	buffer_gl0_inv
	s_and_saveexec_b32 s0, vcc_lo
	s_cbranch_execz .LBB0_11
; %bb.10:
	ds_load_2addr_stride64_b64 v[16:19], v93 offset1:2
	ds_load_2addr_stride64_b64 v[20:23], v93 offset0:4 offset1:6
	ds_load_2addr_stride64_b64 v[24:27], v93 offset0:8 offset1:10
	;; [unrolled: 1-line block ×5, first 2 shown]
	ds_load_b64 v[33:34], v93 offset:12288
.LBB0_11:
	s_or_b32 exec_lo, exec_lo, s0
	s_waitcnt lgkmcnt(0)
	s_barrier
	buffer_gl0_inv
	s_and_saveexec_b32 s0, vcc_lo
	s_cbranch_execz .LBB0_13
; %bb.12:
	v_dual_add_f32 v121, v34, v19 :: v_dual_sub_f32 v108, v20, v2
	v_dual_sub_f32 v111, v18, v33 :: v_dual_add_f32 v124, v1, v23
	v_dual_add_f32 v123, v3, v21 :: v_dual_add_f32 v128, v5, v27
	s_delay_alu instid0(VALU_DEP_3) | instskip(SKIP_1) | instid1(VALU_DEP_3)
	v_dual_mul_f32 v125, 0xbf788fa5, v121 :: v_dual_sub_f32 v110, v26, v4
	v_dual_sub_f32 v109, v22, v0 :: v_dual_add_f32 v126, v7, v25
	v_dual_mul_f32 v127, 0x3f62ad3f, v123 :: v_dual_add_f32 v112, v33, v18
	s_delay_alu instid0(VALU_DEP_3) | instskip(SKIP_1) | instid1(VALU_DEP_2)
	v_dual_fmamk_f32 v73, v111, 0x3e750f2a, v125 :: v_dual_add_f32 v114, v2, v20
	v_dual_mul_f32 v129, 0xbf3f9e67, v124 :: v_dual_sub_f32 v130, v19, v34
	v_dual_fmamk_f32 v74, v108, 0xbeedf032, v127 :: v_dual_add_f32 v73, v17, v73
	v_dual_sub_f32 v107, v24, v6 :: v_dual_sub_f32 v132, v21, v3
	v_dual_mul_f32 v131, 0x3f116cb1, v126 :: v_dual_add_f32 v136, v31, v29
	s_delay_alu instid0(VALU_DEP_3) | instskip(NEXT) | instid1(VALU_DEP_2)
	v_dual_add_f32 v73, v74, v73 :: v_dual_mul_f32 v134, 0xbe750f2a, v130
	v_dual_add_f32 v115, v0, v22 :: v_dual_fmamk_f32 v74, v107, 0xbf52af12, v131
	s_delay_alu instid0(VALU_DEP_4) | instskip(NEXT) | instid1(VALU_DEP_3)
	v_dual_mul_f32 v135, 0x3eedf032, v132 :: v_dual_sub_f32 v142, v27, v5
	v_fmamk_f32 v76, v112, 0xbf788fa5, v134
	v_fmamk_f32 v75, v109, 0x3f29c268, v129
	v_dual_mul_f32 v133, 0xbeb58ec6, v128 :: v_dual_sub_f32 v140, v25, v7
	v_dual_mul_f32 v139, 0x3df6dbef, v136 :: v_dual_add_f32 v118, v4, v26
	s_delay_alu instid0(VALU_DEP_3) | instskip(SKIP_1) | instid1(VALU_DEP_4)
	v_dual_add_f32 v76, v16, v76 :: v_dual_add_f32 v73, v75, v73
	v_mul_f32_e32 v160, 0x3f62ad3f, v124
	v_mul_f32_e32 v141, 0x3f52af12, v140
	v_dual_mul_f32 v146, 0x3df6dbef, v123 :: v_dual_add_f32 v117, v30, v28
	s_delay_alu instid0(VALU_DEP_4) | instskip(SKIP_2) | instid1(VALU_DEP_2)
	v_add_f32_e32 v73, v74, v73
	v_dual_fmamk_f32 v74, v114, 0x3f62ad3f, v135 :: v_dual_sub_f32 v137, v23, v1
	v_dual_sub_f32 v113, v28, v30 :: v_dual_fmamk_f32 v120, v109, 0xbeedf032, v160
	v_dual_mul_f32 v149, 0xbf29c268, v130 :: v_dual_add_f32 v74, v74, v76
	s_delay_alu instid0(VALU_DEP_3) | instskip(NEXT) | instid1(VALU_DEP_3)
	v_mul_f32_e32 v138, 0xbf29c268, v137
	v_fmamk_f32 v76, v113, 0xbf7e222b, v139
	v_fmamk_f32 v75, v110, 0x3f6f5d39, v133
	v_add_f32_e32 v116, v6, v24
	v_mul_f32_e32 v151, 0x3f7e222b, v132
	v_mul_f32_e32 v175, 0xbe750f2a, v132
	s_delay_alu instid0(VALU_DEP_4) | instskip(SKIP_2) | instid1(VALU_DEP_4)
	v_dual_mul_f32 v186, 0xbf788fa5, v124 :: v_dual_add_f32 v73, v75, v73
	v_fmamk_f32 v75, v115, 0xbf3f9e67, v138
	v_dual_fmamk_f32 v77, v116, 0x3f116cb1, v141 :: v_dual_mul_f32 v148, 0x3f116cb1, v124
	v_fmamk_f32 v177, v114, 0xbf788fa5, v175
	v_mul_f32_e32 v153, 0xbf52af12, v137
	s_delay_alu instid0(VALU_DEP_4) | instskip(SKIP_3) | instid1(VALU_DEP_4)
	v_dual_add_f32 v75, v75, v74 :: v_dual_add_f32 v74, v76, v73
	v_mul_f32_e32 v144, 0xbf6f5d39, v142
	v_mul_f32_e32 v170, 0xbf788fa5, v123
	;; [unrolled: 1-line block ×3, first 2 shown]
	v_add_f32_e32 v73, v77, v75
	s_delay_alu instid0(VALU_DEP_4) | instskip(SKIP_2) | instid1(VALU_DEP_3)
	v_dual_sub_f32 v145, v29, v31 :: v_dual_fmamk_f32 v76, v118, 0xbeb58ec6, v144
	v_fmamk_f32 v77, v108, 0xbf7e222b, v146
	v_dual_mul_f32 v157, 0x3eedf032, v142 :: v_dual_mul_f32 v180, 0x3eedf032, v140
	v_mul_f32_e32 v147, 0x3f7e222b, v145
	s_delay_alu instid0(VALU_DEP_4) | instskip(SKIP_2) | instid1(VALU_DEP_4)
	v_add_f32_e32 v73, v76, v73
	v_fmamk_f32 v122, v108, 0x3e750f2a, v170
	v_dual_fmamk_f32 v119, v116, 0xbf788fa5, v155 :: v_dual_mul_f32 v164, 0xbf788fa5, v128
	v_fmamk_f32 v76, v117, 0x3df6dbef, v147
	v_fmamk_f32 v78, v114, 0x3df6dbef, v151
	v_mul_f32_e32 v172, 0xbeb58ec6, v124
	v_mul_f32_e32 v159, 0xbf6f5d39, v145
	v_mul_f32_e32 v161, 0xbf6f5d39, v130
	v_add_f32_e32 v73, v76, v73
	v_dual_fmamk_f32 v76, v112, 0xbf3f9e67, v149 :: v_dual_mul_f32 v143, 0xbf3f9e67, v121
	v_dual_fmamk_f32 v182, v116, 0x3f62ad3f, v180 :: v_dual_mul_f32 v193, 0x3f62ad3f, v136
	v_mul_f32_e32 v150, 0xbf788fa5, v126
	s_delay_alu instid0(VALU_DEP_3) | instskip(SKIP_2) | instid1(VALU_DEP_3)
	v_dual_add_f32 v76, v16, v76 :: v_dual_fmamk_f32 v75, v111, 0x3f29c268, v143
	v_mul_f32_e32 v168, 0x3df6dbef, v121
	v_mul_f32_e32 v152, 0x3f62ad3f, v128
	v_dual_mul_f32 v165, 0x3eedf032, v137 :: v_dual_add_f32 v76, v78, v76
	s_delay_alu instid0(VALU_DEP_4) | instskip(SKIP_3) | instid1(VALU_DEP_4)
	v_dual_add_f32 v75, v17, v75 :: v_dual_mul_f32 v190, 0x3df6dbef, v128
	v_mul_f32_e32 v154, 0xbeb58ec6, v136
	v_mul_f32_e32 v167, 0xbf7e222b, v140
	v_dual_mul_f32 v169, 0x3e750f2a, v142 :: v_dual_fmamk_f32 v188, v109, 0x3e750f2a, v186
	v_add_f32_e32 v75, v77, v75
	v_fmamk_f32 v77, v109, 0x3f52af12, v148
	v_fmamk_f32 v78, v115, 0x3f116cb1, v153
	v_mul_f32_e32 v173, 0xbf7e222b, v130
	v_mul_f32_e32 v189, 0xbf3f9e67, v126
	v_add_f32_e32 v19, v19, v17
	v_add_f32_e32 v75, v77, v75
	v_fmamk_f32 v77, v107, 0xbe750f2a, v150
	v_mul_f32_e32 v156, 0xbeb58ec6, v121
	v_add_f32_e32 v78, v78, v76
	v_mul_f32_e32 v158, 0xbf3f9e67, v123
	s_delay_alu instid0(VALU_DEP_4)
	v_dual_mul_f32 v178, 0x3f6f5d39, v137 :: v_dual_add_f32 v75, v77, v75
	v_fmamk_f32 v77, v110, 0xbeedf032, v152
	v_mul_f32_e32 v183, 0xbf52af12, v142
	v_mul_f32_e32 v187, 0xbf52af12, v130
	v_add_f32_e32 v19, v21, v19
	v_mul_f32_e32 v195, 0x3f62ad3f, v121
	v_add_f32_e32 v75, v77, v75
	v_fmamk_f32 v77, v113, 0x3f6f5d39, v154
	v_fmac_f32_e32 v129, 0xbf29c268, v109
	v_mul_f32_e32 v184, 0xbeb58ec6, v123
	v_mul_f32_e32 v192, 0xbe750f2a, v137
	v_add_f32_e32 v18, v18, v16
	v_dual_add_f32 v76, v77, v75 :: v_dual_fmamk_f32 v75, v111, 0x3f6f5d39, v156
	v_dual_add_f32 v77, v119, v78 :: v_dual_fmamk_f32 v78, v118, 0x3f62ad3f, v157
	v_fmamk_f32 v119, v108, 0xbf29c268, v158
	v_fmamk_f32 v185, v108, 0x3f6f5d39, v184
	s_delay_alu instid0(VALU_DEP_4) | instskip(NEXT) | instid1(VALU_DEP_4)
	v_dual_add_f32 v75, v17, v75 :: v_dual_mul_f32 v196, 0x3f7e222b, v142
	v_dual_add_f32 v77, v78, v77 :: v_dual_fmamk_f32 v78, v117, 0xbeb58ec6, v159
	s_delay_alu instid0(VALU_DEP_2) | instskip(SKIP_2) | instid1(VALU_DEP_4)
	v_dual_add_f32 v18, v20, v18 :: v_dual_add_f32 v119, v119, v75
	v_mul_f32_e32 v179, 0xbf3f9e67, v136
	v_dual_fmac_f32 v127, 0x3eedf032, v108 :: v_dual_fmac_f32 v160, 0x3eedf032, v109
	v_add_f32_e32 v75, v78, v77
	v_fmamk_f32 v77, v112, 0xbeb58ec6, v161
	v_mul_f32_e32 v162, 0x3df6dbef, v126
	v_add_f32_e32 v78, v120, v119
	v_dual_add_f32 v18, v22, v18 :: v_dual_mul_f32 v163, 0x3f29c268, v132
	s_delay_alu instid0(VALU_DEP_4) | instskip(NEXT) | instid1(VALU_DEP_4)
	v_add_f32_e32 v77, v16, v77
	v_fmamk_f32 v119, v107, 0x3f7e222b, v162
	v_mul_f32_e32 v166, 0x3f116cb1, v136
	v_mul_f32_e32 v174, 0x3f62ad3f, v126
	v_mul_f32_e32 v181, 0x3f116cb1, v121
	v_mul_f32_e32 v126, 0xbeb58ec6, v126
	v_dual_add_f32 v78, v119, v78 :: v_dual_fmamk_f32 v119, v110, 0xbe750f2a, v164
	v_fmac_f32_e32 v164, 0x3e750f2a, v110
	v_dual_fmac_f32 v131, 0x3f52af12, v107 :: v_dual_add_f32 v18, v24, v18
	v_mul_f32_e32 v24, 0xbf7e222b, v137
	s_delay_alu instid0(VALU_DEP_4)
	v_dual_add_f32 v78, v119, v78 :: v_dual_fmamk_f32 v119, v113, 0xbf52af12, v166
	v_add_f32_e32 v19, v23, v19
	v_mul_f32_e32 v23, 0xbeedf032, v130
	v_add_f32_e32 v18, v26, v18
	v_fmac_f32_e32 v148, 0xbf52af12, v109
	v_add_f32_e32 v78, v119, v78
	v_fmamk_f32 v119, v111, 0x3f7e222b, v168
	v_add_f32_e32 v19, v25, v19
	v_mul_f32_e32 v25, 0xbf52af12, v132
	v_mul_f32_e32 v123, 0x3f116cb1, v123
	s_delay_alu instid0(VALU_DEP_4) | instskip(SKIP_3) | instid1(VALU_DEP_4)
	v_dual_fmamk_f32 v22, v112, 0x3f62ad3f, v23 :: v_dual_add_f32 v119, v17, v119
	v_fmac_f32_e32 v168, 0xbf7e222b, v111
	v_fmac_f32_e32 v133, 0xbf6f5d39, v110
	v_dual_add_f32 v18, v28, v18 :: v_dual_add_f32 v19, v27, v19
	v_dual_add_f32 v119, v122, v119 :: v_dual_fmamk_f32 v122, v109, 0xbf6f5d39, v172
	v_dual_mul_f32 v27, 0xbf6f5d39, v140 :: v_dual_fmac_f32 v156, 0xbf6f5d39, v111
	s_delay_alu instid0(VALU_DEP_3) | instskip(NEXT) | instid1(VALU_DEP_3)
	v_dual_add_f32 v18, v30, v18 :: v_dual_add_f32 v19, v29, v19
	v_dual_add_f32 v119, v122, v119 :: v_dual_fmamk_f32 v122, v107, 0xbeedf032, v174
	v_mul_f32_e32 v176, 0x3f116cb1, v128
	v_mul_f32_e32 v128, 0xbf3f9e67, v128
	;; [unrolled: 1-line block ×4, first 2 shown]
	v_add_f32_e32 v119, v122, v119
	v_dual_mul_f32 v171, 0x3f52af12, v145 :: v_dual_fmamk_f32 v122, v110, 0x3f52af12, v176
	v_dual_add_f32 v4, v4, v18 :: v_dual_add_f32 v19, v31, v19
	v_fma_f32 v31, 0xbf788fa5, v114, -v175
	s_delay_alu instid0(VALU_DEP_3) | instskip(SKIP_4) | instid1(VALU_DEP_3)
	v_dual_mul_f32 v26, 0xbf788fa5, v136 :: v_dual_add_f32 v119, v122, v119
	v_fmamk_f32 v122, v113, 0x3f29c268, v179
	v_fmamk_f32 v120, v114, 0xbf3f9e67, v163
	v_dual_add_f32 v4, v6, v4 :: v_dual_add_f32 v19, v5, v19
	v_fmac_f32_e32 v154, 0xbf6f5d39, v113
	v_dual_fmac_f32 v158, 0x3f29c268, v108 :: v_dual_add_f32 v77, v120, v77
	v_fmamk_f32 v120, v115, 0x3f62ad3f, v165
	s_delay_alu instid0(VALU_DEP_4) | instskip(SKIP_2) | instid1(VALU_DEP_4)
	v_add_f32_e32 v7, v7, v19
	v_fmamk_f32 v19, v118, 0xbf3f9e67, v29
	v_fmac_f32_e32 v125, 0xbe750f2a, v111
	v_dual_fmac_f32 v162, 0xbf7e222b, v107 :: v_dual_add_f32 v77, v120, v77
	s_delay_alu instid0(VALU_DEP_4) | instskip(SKIP_2) | instid1(VALU_DEP_3)
	v_dual_fmamk_f32 v120, v116, 0x3df6dbef, v167 :: v_dual_add_f32 v1, v1, v7
	v_add_f32_e32 v0, v0, v4
	v_fmamk_f32 v197, v108, 0x3f52af12, v123
	v_dual_mul_f32 v124, 0x3df6dbef, v124 :: v_dual_add_f32 v77, v120, v77
	v_fmamk_f32 v120, v118, 0xbf788fa5, v169
	s_delay_alu instid0(VALU_DEP_4) | instskip(SKIP_1) | instid1(VALU_DEP_3)
	v_dual_add_f32 v0, v2, v0 :: v_dual_add_f32 v1, v3, v1
	v_dual_add_f32 v3, v17, v125 :: v_dual_fmac_f32 v146, 0x3f7e222b, v108
	v_dual_add_f32 v77, v120, v77 :: v_dual_fmamk_f32 v120, v117, 0x3f116cb1, v171
	s_delay_alu instid0(VALU_DEP_3) | instskip(NEXT) | instid1(VALU_DEP_3)
	v_add_f32_e32 v0, v33, v0
	v_add_f32_e32 v2, v127, v3
	v_fmac_f32_e32 v150, 0x3e750f2a, v107
	s_delay_alu instid0(VALU_DEP_4) | instskip(SKIP_1) | instid1(VALU_DEP_4)
	v_dual_fmac_f32 v152, 0x3eedf032, v110 :: v_dual_add_f32 v77, v120, v77
	v_fmamk_f32 v120, v112, 0x3df6dbef, v173
	v_add_f32_e32 v2, v129, v2
	v_fmamk_f32 v28, v113, 0x3e750f2a, v26
	v_fmac_f32_e32 v26, 0xbe750f2a, v113
	v_fmac_f32_e32 v166, 0x3f52af12, v113
	v_add_f32_e32 v120, v16, v120
	v_add_f32_e32 v2, v131, v2
	v_fmac_f32_e32 v170, 0xbe750f2a, v108
	v_fmac_f32_e32 v139, 0x3f7e222b, v113
	;; [unrolled: 1-line block ×3, first 2 shown]
	v_dual_add_f32 v120, v177, v120 :: v_dual_fmamk_f32 v177, v115, 0xbeb58ec6, v178
	v_add_f32_e32 v2, v133, v2
	v_fmac_f32_e32 v172, 0x3f6f5d39, v109
	v_fmac_f32_e32 v184, 0xbf6f5d39, v108
	;; [unrolled: 1-line block ×3, first 2 shown]
	v_dual_add_f32 v177, v177, v120 :: v_dual_add_f32 v120, v122, v119
	v_fmamk_f32 v119, v111, 0x3f52af12, v181
	v_fmac_f32_e32 v176, 0xbf52af12, v110
	s_delay_alu instid0(VALU_DEP_3) | instskip(SKIP_1) | instid1(VALU_DEP_4)
	v_add_f32_e32 v122, v182, v177
	v_fmamk_f32 v177, v118, 0x3f116cb1, v183
	v_dual_mul_f32 v182, 0xbf29c268, v145 :: v_dual_add_f32 v119, v17, v119
	s_delay_alu instid0(VALU_DEP_2) | instskip(NEXT) | instid1(VALU_DEP_2)
	v_add_f32_e32 v122, v177, v122
	v_fmamk_f32 v177, v117, 0xbf3f9e67, v182
	s_delay_alu instid0(VALU_DEP_3) | instskip(NEXT) | instid1(VALU_DEP_2)
	v_add_f32_e32 v185, v185, v119
	v_add_f32_e32 v119, v177, v122
	v_mul_f32_e32 v177, 0xbf6f5d39, v132
	v_fmamk_f32 v122, v112, 0x3f116cb1, v187
	s_delay_alu instid0(VALU_DEP_4) | instskip(SKIP_1) | instid1(VALU_DEP_3)
	v_dual_add_f32 v185, v188, v185 :: v_dual_fmamk_f32 v188, v107, 0xbf29c268, v189
	v_fmac_f32_e32 v189, 0x3f29c268, v107
	v_dual_fmamk_f32 v191, v114, 0xbeb58ec6, v177 :: v_dual_add_f32 v122, v16, v122
	s_delay_alu instid0(VALU_DEP_3) | instskip(NEXT) | instid1(VALU_DEP_2)
	v_dual_add_f32 v185, v188, v185 :: v_dual_fmamk_f32 v188, v110, 0xbf7e222b, v190
	v_add_f32_e32 v122, v191, v122
	v_fmamk_f32 v191, v115, 0xbf788fa5, v192
	s_delay_alu instid0(VALU_DEP_3) | instskip(SKIP_1) | instid1(VALU_DEP_3)
	v_dual_add_f32 v185, v188, v185 :: v_dual_fmamk_f32 v188, v113, 0xbeedf032, v193
	v_fmac_f32_e32 v193, 0x3eedf032, v113
	v_add_f32_e32 v121, v191, v122
	v_fmamk_f32 v191, v116, 0xbf3f9e67, v194
	s_delay_alu instid0(VALU_DEP_4) | instskip(NEXT) | instid1(VALU_DEP_2)
	v_add_f32_e32 v122, v188, v185
	v_dual_fmamk_f32 v188, v118, 0x3df6dbef, v196 :: v_dual_add_f32 v121, v191, v121
	v_mul_f32_e32 v191, 0x3eedf032, v145
	s_delay_alu instid0(VALU_DEP_1) | instskip(SKIP_2) | instid1(VALU_DEP_2)
	v_dual_add_f32 v121, v188, v121 :: v_dual_fmamk_f32 v188, v117, 0x3f62ad3f, v191
	v_fmamk_f32 v185, v111, 0x3eedf032, v195
	v_fmac_f32_e32 v195, 0xbeedf032, v111
	v_add_f32_e32 v185, v17, v185
	s_delay_alu instid0(VALU_DEP_1) | instskip(SKIP_2) | instid1(VALU_DEP_2)
	v_add_f32_e32 v185, v197, v185
	v_fmamk_f32 v197, v109, 0x3f7e222b, v124
	v_fmac_f32_e32 v124, 0xbf7e222b, v109
	v_add_f32_e32 v21, v197, v185
	v_fmamk_f32 v185, v107, 0x3f6f5d39, v126
	v_fmac_f32_e32 v126, 0xbf6f5d39, v107
	s_delay_alu instid0(VALU_DEP_2) | instskip(SKIP_1) | instid1(VALU_DEP_2)
	v_dual_add_f32 v20, v185, v21 :: v_dual_fmamk_f32 v21, v110, 0x3f29c268, v128
	v_fmac_f32_e32 v128, 0xbf29c268, v110
	v_dual_add_f32 v20, v21, v20 :: v_dual_add_f32 v21, v16, v22
	v_fmamk_f32 v22, v114, 0x3f116cb1, v25
	v_fmac_f32_e32 v123, 0xbf52af12, v108
	s_delay_alu instid0(VALU_DEP_3) | instskip(SKIP_1) | instid1(VALU_DEP_4)
	v_add_f32_e32 v5, v28, v20
	v_fma_f32 v20, 0x3df6dbef, v114, -v151
	v_dual_add_f32 v21, v22, v21 :: v_dual_fmamk_f32 v22, v115, 0x3df6dbef, v24
	v_add_f32_e32 v121, v188, v121
	v_fma_f32 v28, 0x3df6dbef, v116, -v167
	s_delay_alu instid0(VALU_DEP_3) | instskip(NEXT) | instid1(VALU_DEP_1)
	v_dual_add_f32 v21, v22, v21 :: v_dual_fmamk_f32 v22, v116, 0xbeb58ec6, v27
	v_add_f32_e32 v18, v22, v21
	v_mul_f32_e32 v22, 0xbe750f2a, v145
	v_fma_f32 v21, 0xbf3f9e67, v114, -v163
	s_delay_alu instid0(VALU_DEP_2) | instskip(SKIP_2) | instid1(VALU_DEP_3)
	v_dual_add_f32 v6, v19, v18 :: v_dual_fmamk_f32 v7, v117, 0xbf788fa5, v22
	v_fma_f32 v18, 0xbeb58ec6, v118, -v144
	v_fma_f32 v22, 0xbf788fa5, v117, -v22
	v_add_f32_e32 v4, v7, v6
	v_fma_f32 v6, 0xbf788fa5, v112, -v134
	s_delay_alu instid0(VALU_DEP_1) | instskip(SKIP_1) | instid1(VALU_DEP_1)
	v_add_f32_e32 v3, v16, v6
	v_fma_f32 v6, 0x3f62ad3f, v114, -v135
	v_add_f32_e32 v3, v6, v3
	v_fma_f32 v6, 0xbf3f9e67, v115, -v138
	s_delay_alu instid0(VALU_DEP_1) | instskip(SKIP_1) | instid1(VALU_DEP_1)
	v_add_f32_e32 v3, v6, v3
	v_fma_f32 v6, 0x3f116cb1, v116, -v141
	v_dual_add_f32 v6, v6, v3 :: v_dual_add_f32 v3, v139, v2
	v_fma_f32 v2, 0xbf3f9e67, v112, -v149
	v_fma_f32 v23, 0x3f62ad3f, v112, -v23
	s_delay_alu instid0(VALU_DEP_3) | instskip(SKIP_1) | instid1(VALU_DEP_4)
	v_add_f32_e32 v6, v18, v6
	v_fma_f32 v18, 0x3df6dbef, v117, -v147
	v_add_f32_e32 v19, v16, v2
	s_delay_alu instid0(VALU_DEP_2) | instskip(NEXT) | instid1(VALU_DEP_2)
	v_add_f32_e32 v2, v18, v6
	v_add_f32_e32 v18, v20, v19
	v_fma_f32 v19, 0x3f116cb1, v115, -v153
	v_add_f32_e32 v20, v17, v156
	s_delay_alu instid0(VALU_DEP_2) | instskip(SKIP_1) | instid1(VALU_DEP_3)
	v_add_f32_e32 v18, v19, v18
	v_fma_f32 v19, 0xbf788fa5, v116, -v155
	v_add_f32_e32 v20, v158, v20
	s_delay_alu instid0(VALU_DEP_2) | instskip(SKIP_1) | instid1(VALU_DEP_3)
	v_add_f32_e32 v18, v19, v18
	v_fma_f32 v19, 0x3f62ad3f, v118, -v157
	v_add_f32_e32 v20, v160, v20
	s_delay_alu instid0(VALU_DEP_2) | instskip(SKIP_1) | instid1(VALU_DEP_3)
	v_add_f32_e32 v18, v19, v18
	v_fma_f32 v19, 0xbeb58ec6, v117, -v159
	v_dual_fmac_f32 v143, 0xbf29c268, v111 :: v_dual_add_f32 v20, v162, v20
	s_delay_alu instid0(VALU_DEP_1) | instskip(NEXT) | instid1(VALU_DEP_1)
	v_add_f32_e32 v7, v17, v143
	v_add_f32_e32 v7, v146, v7
	s_delay_alu instid0(VALU_DEP_1) | instskip(NEXT) | instid1(VALU_DEP_1)
	v_add_f32_e32 v7, v148, v7
	v_add_f32_e32 v7, v150, v7
	;; [unrolled: 3-line block ×3, first 2 shown]
	v_fma_f32 v6, 0xbeb58ec6, v112, -v161
	s_delay_alu instid0(VALU_DEP_1) | instskip(SKIP_1) | instid1(VALU_DEP_2)
	v_dual_add_f32 v6, v16, v6 :: v_dual_add_f32 v1, v34, v1
	v_fma_f32 v34, 0xbeb58ec6, v114, -v177
	v_add_f32_e32 v6, v21, v6
	v_fma_f32 v21, 0x3f62ad3f, v115, -v165
	s_delay_alu instid0(VALU_DEP_1) | instskip(SKIP_2) | instid1(VALU_DEP_3)
	v_add_f32_e32 v21, v21, v6
	v_add_f32_e32 v6, v19, v18
	;; [unrolled: 1-line block ×4, first 2 shown]
	v_fma_f32 v21, 0xbf788fa5, v118, -v169
	s_delay_alu instid0(VALU_DEP_3) | instskip(SKIP_1) | instid1(VALU_DEP_3)
	v_dual_add_f32 v19, v166, v18 :: v_dual_add_f32 v28, v17, v168
	v_fma_f32 v18, 0x3df6dbef, v112, -v173
	v_add_f32_e32 v20, v21, v20
	v_fma_f32 v21, 0x3f116cb1, v117, -v171
	s_delay_alu instid0(VALU_DEP_4) | instskip(NEXT) | instid1(VALU_DEP_4)
	v_add_f32_e32 v28, v170, v28
	v_add_f32_e32 v30, v16, v18
	s_delay_alu instid0(VALU_DEP_3) | instskip(NEXT) | instid1(VALU_DEP_3)
	v_add_f32_e32 v18, v21, v20
	v_dual_add_f32 v20, v172, v28 :: v_dual_fmac_f32 v181, 0xbf52af12, v111
	v_fma_f32 v28, 0xbeb58ec6, v115, -v178
	s_delay_alu instid0(VALU_DEP_2) | instskip(NEXT) | instid1(VALU_DEP_3)
	v_dual_add_f32 v20, v174, v20 :: v_dual_add_f32 v21, v31, v30
	v_add_f32_e32 v30, v17, v181
	v_add_f32_e32 v17, v17, v195
	v_fma_f32 v31, 0x3f116cb1, v118, -v183
	s_delay_alu instid0(VALU_DEP_4) | instskip(SKIP_4) | instid1(VALU_DEP_2)
	v_add_f32_e32 v20, v176, v20
	v_add_f32_e32 v21, v28, v21
	;; [unrolled: 1-line block ×3, first 2 shown]
	v_fma_f32 v28, 0x3f62ad3f, v116, -v180
	v_dual_fmac_f32 v190, 0x3f7e222b, v110 :: v_dual_add_f32 v17, v123, v17
	v_dual_add_f32 v28, v28, v21 :: v_dual_add_f32 v21, v179, v20
	v_fma_f32 v20, 0x3f116cb1, v112, -v187
	v_fmac_f32_e32 v186, 0xbe750f2a, v109
	s_delay_alu instid0(VALU_DEP_3) | instskip(SKIP_1) | instid1(VALU_DEP_3)
	v_dual_add_f32 v17, v124, v17 :: v_dual_add_f32 v28, v31, v28
	v_fma_f32 v31, 0xbf3f9e67, v117, -v182
	v_dual_add_f32 v33, v16, v20 :: v_dual_add_f32 v30, v186, v30
	s_delay_alu instid0(VALU_DEP_2) | instskip(SKIP_1) | instid1(VALU_DEP_3)
	v_dual_add_f32 v17, v126, v17 :: v_dual_add_f32 v20, v31, v28
	v_fma_f32 v31, 0xbf788fa5, v115, -v192
	v_add_f32_e32 v30, v189, v30
	s_delay_alu instid0(VALU_DEP_1) | instskip(SKIP_3) | instid1(VALU_DEP_1)
	v_add_f32_e32 v28, v190, v30
	v_add_f32_e32 v30, v34, v33
	;; [unrolled: 1-line block ×3, first 2 shown]
	v_fma_f32 v23, 0x3f116cb1, v114, -v25
	v_add_f32_e32 v16, v23, v16
	v_fma_f32 v23, 0x3df6dbef, v115, -v24
	s_delay_alu instid0(VALU_DEP_1) | instskip(SKIP_4) | instid1(VALU_DEP_4)
	v_add_f32_e32 v16, v23, v16
	v_fma_f32 v23, 0xbeb58ec6, v116, -v27
	v_and_b32_e32 v27, 0xffff, v94
	v_add_f32_e32 v25, v31, v30
	v_fma_f32 v30, 0xbf3f9e67, v116, -v194
	v_add_f32_e32 v16, v23, v16
	v_fma_f32 v23, 0xbf3f9e67, v118, -v29
	v_add_f32_e32 v29, v128, v17
	s_delay_alu instid0(VALU_DEP_4) | instskip(SKIP_1) | instid1(VALU_DEP_4)
	v_dual_add_f32 v24, v30, v25 :: v_dual_add_f32 v17, v193, v28
	v_fma_f32 v25, 0x3df6dbef, v118, -v196
	v_dual_add_f32 v30, v23, v16 :: v_dual_lshlrev_b32 v27, 3, v27
	s_delay_alu instid0(VALU_DEP_2) | instskip(SKIP_1) | instid1(VALU_DEP_3)
	v_dual_add_f32 v23, v26, v29 :: v_dual_add_f32 v24, v25, v24
	v_fma_f32 v25, 0x3f62ad3f, v117, -v191
	v_add_f32_e32 v22, v22, v30
	s_delay_alu instid0(VALU_DEP_2)
	v_add_f32_e32 v16, v25, v24
	ds_store_2addr_b64 v27, v[0:1], v[4:5] offset1:1
	ds_store_2addr_b64 v27, v[121:122], v[119:120] offset0:2 offset1:3
	ds_store_2addr_b64 v27, v[77:78], v[75:76] offset0:4 offset1:5
	;; [unrolled: 1-line block ×5, first 2 shown]
	ds_store_b64 v27, v[22:23] offset:96
.LBB0_13:
	s_or_b32 exec_lo, exec_lo, s0
	v_add_nc_u32_e32 v0, 0x1a00, v93
	v_add_nc_u32_e32 v1, 0x2600, v93
	s_waitcnt lgkmcnt(0)
	s_barrier
	buffer_gl0_inv
	ds_load_2addr_b64 v[3:6], v0 offset1:208
	ds_load_2addr_b64 v[16:19], v1 offset0:32 offset1:240
	s_waitcnt lgkmcnt(1)
	v_dual_mul_f32 v29, v42, v6 :: v_dual_add_nc_u32 v2, 0xc00, v93
	ds_load_2addr_b64 v[20:23], v93 offset1:208
	ds_load_2addr_b64 v[24:27], v2 offset0:32 offset1:240
	v_mul_f32_e32 v7, v36, v4
	v_mul_f32_e32 v28, v36, v3
	s_waitcnt lgkmcnt(2)
	v_dual_mul_f32 v30, v42, v5 :: v_dual_mul_f32 v33, v40, v16
	v_dual_mul_f32 v31, v40, v17 :: v_dual_mul_f32 v34, v38, v19
	v_dual_mul_f32 v36, v38, v18 :: v_dual_fmac_f32 v7, v35, v3
	v_fma_f32 v4, v35, v4, -v28
	s_delay_alu instid0(VALU_DEP_4)
	v_fma_f32 v6, v41, v6, -v30
	v_fmac_f32_e32 v29, v41, v5
	v_dual_fmac_f32 v31, v39, v16 :: v_dual_fmac_f32 v34, v37, v18
	v_fma_f32 v17, v39, v17, -v33
	v_fma_f32 v19, v37, v19, -v36
	s_waitcnt lgkmcnt(0)
	s_barrier
	buffer_gl0_inv
	v_dual_sub_f32 v3, v20, v7 :: v_dual_sub_f32 v4, v21, v4
	v_dual_sub_f32 v6, v23, v6 :: v_dual_sub_f32 v5, v22, v29
	;; [unrolled: 1-line block ×4, first 2 shown]
	s_delay_alu instid0(VALU_DEP_4)
	v_fma_f32 v20, v20, 2.0, -v3
	v_fma_f32 v21, v21, 2.0, -v4
	;; [unrolled: 1-line block ×8, first 2 shown]
	ds_store_2addr_b64 v95, v[20:21], v[3:4] offset1:13
	ds_store_2addr_b64 v98, v[22:23], v[5:6] offset1:13
	;; [unrolled: 1-line block ×4, first 2 shown]
	s_waitcnt lgkmcnt(0)
	s_barrier
	buffer_gl0_inv
	ds_load_2addr_b64 v[3:6], v0 offset1:208
	ds_load_2addr_b64 v[16:19], v1 offset0:32 offset1:240
	ds_load_2addr_b64 v[20:23], v93 offset1:208
	ds_load_2addr_b64 v[24:27], v2 offset0:32 offset1:240
	s_waitcnt lgkmcnt(0)
	s_barrier
	buffer_gl0_inv
	v_mul_f32_e32 v30, v50, v5
	v_dual_mul_f32 v28, v48, v3 :: v_dual_mul_f32 v29, v50, v6
	v_dual_mul_f32 v31, v46, v17 :: v_dual_mul_f32 v34, v44, v19
	v_mul_f32_e32 v7, v48, v4
	s_delay_alu instid0(VALU_DEP_4)
	v_fma_f32 v6, v49, v6, -v30
	v_mul_f32_e32 v33, v46, v16
	v_fma_f32 v4, v47, v4, -v28
	v_mul_f32_e32 v35, v44, v18
	v_fmac_f32_e32 v34, v43, v18
	v_fmac_f32_e32 v7, v47, v3
	;; [unrolled: 1-line block ×3, first 2 shown]
	v_dual_fmac_f32 v29, v49, v5 :: v_dual_sub_f32 v6, v23, v6
	v_fma_f32 v17, v45, v17, -v33
	v_sub_f32_e32 v4, v21, v4
	s_delay_alu instid0(VALU_DEP_4) | instskip(SKIP_4) | instid1(VALU_DEP_4)
	v_sub_f32_e32 v16, v24, v31
	v_fma_f32 v30, v43, v19, -v35
	v_dual_sub_f32 v28, v26, v34 :: v_dual_sub_f32 v3, v20, v7
	v_sub_f32_e32 v5, v22, v29
	v_sub_f32_e32 v17, v25, v17
	;; [unrolled: 1-line block ×3, first 2 shown]
	v_fma_f32 v19, v21, 2.0, -v4
	v_fma_f32 v18, v20, 2.0, -v3
	;; [unrolled: 1-line block ×8, first 2 shown]
	ds_store_2addr_b64 v102, v[18:19], v[3:4] offset1:26
	ds_store_2addr_b64 v103, v[20:21], v[5:6] offset1:26
	;; [unrolled: 1-line block ×4, first 2 shown]
	s_waitcnt lgkmcnt(0)
	s_barrier
	buffer_gl0_inv
	ds_load_2addr_b64 v[3:6], v2 offset0:32 offset1:240
	ds_load_2addr_b64 v[16:19], v0 offset1:208
	ds_load_2addr_b64 v[20:23], v1 offset0:32 offset1:240
	ds_load_2addr_b64 v[24:27], v93 offset1:208
	s_waitcnt lgkmcnt(0)
	s_barrier
	buffer_gl0_inv
	v_dual_mul_f32 v7, v13, v4 :: v_dual_mul_f32 v28, v15, v17
	v_mul_f32_e32 v29, v54, v21
	v_mul_f32_e32 v15, v15, v16
	s_delay_alu instid0(VALU_DEP_3) | instskip(NEXT) | instid1(VALU_DEP_3)
	v_dual_fmac_f32 v7, v12, v3 :: v_dual_fmac_f32 v28, v14, v16
	v_fmac_f32_e32 v29, v53, v20
	v_dual_mul_f32 v13, v13, v3 :: v_dual_mul_f32 v16, v52, v22
	s_delay_alu instid0(VALU_DEP_1)
	v_fma_f32 v3, v12, v4, -v13
	v_fma_f32 v4, v14, v17, -v15
	v_mul_f32_e32 v14, v11, v19
	v_mul_f32_e32 v12, v54, v20
	v_fma_f32 v16, v51, v23, -v16
	v_mul_f32_e32 v13, v9, v6
	s_delay_alu instid0(VALU_DEP_4) | instskip(SKIP_2) | instid1(VALU_DEP_4)
	v_dual_sub_f32 v15, v25, v4 :: v_dual_fmac_f32 v14, v10, v18
	v_mul_f32_e32 v9, v9, v5
	v_fma_f32 v12, v53, v21, -v12
	v_fmac_f32_e32 v13, v8, v5
	v_mul_f32_e32 v5, v11, v18
	v_fma_f32 v17, v25, 2.0, -v15
	v_fma_f32 v6, v8, v6, -v9
	v_dual_sub_f32 v8, v7, v29 :: v_dual_sub_f32 v9, v24, v28
	v_sub_f32_e32 v12, v3, v12
	v_fma_f32 v10, v10, v19, -v5
	s_delay_alu instid0(VALU_DEP_3)
	v_fma_f32 v4, v7, 2.0, -v8
	v_mul_f32_e32 v7, v52, v23
	v_fma_f32 v11, v24, 2.0, -v9
	v_fma_f32 v18, v3, 2.0, -v12
	v_sub_f32_e32 v19, v27, v10
	v_sub_f32_e32 v8, v15, v8
	v_fmac_f32_e32 v7, v51, v22
	s_delay_alu instid0(VALU_DEP_4) | instskip(SKIP_2) | instid1(VALU_DEP_4)
	v_dual_sub_f32 v3, v11, v4 :: v_dual_sub_f32 v4, v17, v18
	v_sub_f32_e32 v18, v26, v14
	v_sub_f32_e32 v14, v6, v16
	;; [unrolled: 1-line block ×3, first 2 shown]
	s_delay_alu instid0(VALU_DEP_4)
	v_fma_f32 v5, v11, 2.0, -v3
	v_add_f32_e32 v7, v9, v12
	v_fma_f32 v16, v26, 2.0, -v18
	v_fma_f32 v20, v27, 2.0, -v19
	;; [unrolled: 1-line block ×4, first 2 shown]
	v_add_f32_e32 v13, v18, v14
	v_sub_f32_e32 v14, v19, v10
	v_fma_f32 v6, v17, 2.0, -v4
	v_sub_f32_e32 v11, v16, v11
	v_sub_f32_e32 v12, v20, v12
	v_fma_f32 v9, v9, 2.0, -v7
	v_fma_f32 v10, v15, 2.0, -v8
	;; [unrolled: 1-line block ×6, first 2 shown]
	ds_store_2addr_b64 v106, v[5:6], v[9:10] offset1:52
	ds_store_2addr_b64 v106, v[3:4], v[7:8] offset0:104 offset1:156
	ds_store_2addr_b64 v105, v[15:16], v[17:18] offset1:52
	ds_store_2addr_b64 v105, v[11:12], v[13:14] offset0:104 offset1:156
	s_waitcnt lgkmcnt(0)
	s_barrier
	buffer_gl0_inv
	ds_load_2addr_b64 v[3:6], v0 offset1:208
	ds_load_2addr_b64 v[7:10], v1 offset0:32 offset1:240
	ds_load_2addr_b64 v[11:14], v93 offset1:208
	ds_load_2addr_b64 v[15:18], v2 offset0:32 offset1:240
	s_waitcnt lgkmcnt(0)
	s_barrier
	buffer_gl0_inv
	v_mul_f32_e32 v19, v60, v4
	v_mul_f32_e32 v20, v60, v3
	v_dual_mul_f32 v22, v58, v8 :: v_dual_mul_f32 v21, v60, v6
	v_mul_f32_e32 v23, v56, v10
	s_delay_alu instid0(VALU_DEP_4)
	v_fmac_f32_e32 v19, v59, v3
	v_mul_f32_e32 v3, v60, v5
	v_fma_f32 v4, v59, v4, -v20
	v_mul_f32_e32 v20, v58, v7
	v_dual_fmac_f32 v22, v57, v7 :: v_dual_mul_f32 v7, v56, v9
	v_fmac_f32_e32 v21, v59, v5
	v_fma_f32 v6, v59, v6, -v3
	s_delay_alu instid0(VALU_DEP_4) | instskip(SKIP_4) | instid1(VALU_DEP_4)
	v_fma_f32 v20, v57, v8, -v20
	v_dual_sub_f32 v3, v11, v19 :: v_dual_sub_f32 v4, v12, v4
	v_fmac_f32_e32 v23, v55, v9
	v_fma_f32 v10, v55, v10, -v7
	v_dual_sub_f32 v5, v13, v21 :: v_dual_sub_f32 v6, v14, v6
	v_fma_f32 v7, v11, 2.0, -v3
	v_fma_f32 v8, v12, 2.0, -v4
	v_dual_sub_f32 v11, v15, v22 :: v_dual_sub_f32 v12, v16, v20
	v_dual_sub_f32 v19, v17, v23 :: v_dual_sub_f32 v20, v18, v10
	v_fma_f32 v9, v13, 2.0, -v5
	v_fma_f32 v10, v14, 2.0, -v6
	s_delay_alu instid0(VALU_DEP_4)
	v_fma_f32 v13, v15, 2.0, -v11
	v_fma_f32 v14, v16, 2.0, -v12
	;; [unrolled: 1-line block ×3, first 2 shown]
	v_add_nc_u32_e32 v17, 0x1a00, v99
	v_fma_f32 v16, v18, 2.0, -v20
	v_add_nc_u32_e32 v18, 0x2600, v104
	ds_store_2addr_b64 v93, v[7:8], v[3:4] offset1:208
	ds_store_2addr_b64 v2, v[9:10], v[5:6] offset0:32 offset1:240
	ds_store_2addr_b64 v17, v[13:14], v[11:12] offset1:208
	ds_store_2addr_b64 v18, v[15:16], v[19:20] offset0:32 offset1:240
	s_waitcnt lgkmcnt(0)
	s_barrier
	buffer_gl0_inv
	ds_load_2addr_b64 v[3:6], v0 offset1:208
	ds_load_2addr_b64 v[7:10], v1 offset0:32 offset1:240
	ds_load_2addr_b64 v[11:14], v93 offset1:208
	ds_load_2addr_b64 v[15:18], v2 offset0:32 offset1:240
	s_waitcnt lgkmcnt(0)
	s_barrier
	buffer_gl0_inv
	v_mul_f32_e32 v19, v64, v4
	v_mul_f32_e32 v20, v64, v3
	v_dual_mul_f32 v22, v64, v8 :: v_dual_mul_f32 v21, v62, v6
	v_mul_f32_e32 v23, v62, v10
	s_delay_alu instid0(VALU_DEP_4)
	v_fmac_f32_e32 v19, v63, v3
	v_mul_f32_e32 v3, v62, v5
	v_fma_f32 v4, v63, v4, -v20
	v_mul_f32_e32 v20, v64, v7
	v_dual_fmac_f32 v22, v63, v7 :: v_dual_mul_f32 v7, v62, v9
	v_fmac_f32_e32 v21, v61, v5
	v_fma_f32 v6, v61, v6, -v3
	s_delay_alu instid0(VALU_DEP_4) | instskip(SKIP_4) | instid1(VALU_DEP_4)
	v_fma_f32 v20, v63, v8, -v20
	v_dual_sub_f32 v3, v11, v19 :: v_dual_sub_f32 v4, v12, v4
	v_fmac_f32_e32 v23, v61, v9
	v_fma_f32 v10, v61, v10, -v7
	v_dual_sub_f32 v5, v13, v21 :: v_dual_sub_f32 v6, v14, v6
	v_fma_f32 v7, v11, 2.0, -v3
	v_fma_f32 v8, v12, 2.0, -v4
	v_dual_sub_f32 v11, v15, v22 :: v_dual_sub_f32 v12, v16, v20
	v_dual_sub_f32 v19, v17, v23 :: v_dual_sub_f32 v20, v18, v10
	v_fma_f32 v9, v13, 2.0, -v5
	v_fma_f32 v10, v14, 2.0, -v6
	s_delay_alu instid0(VALU_DEP_4)
	v_fma_f32 v13, v15, 2.0, -v11
	v_fma_f32 v14, v16, 2.0, -v12
	;; [unrolled: 1-line block ×4, first 2 shown]
	ds_store_2addr_b64 v93, v[7:8], v[9:10] offset1:208
	ds_store_2addr_b64 v2, v[3:4], v[5:6] offset0:32 offset1:240
	ds_store_2addr_b64 v0, v[13:14], v[15:16] offset1:208
	ds_store_2addr_b64 v1, v[11:12], v[19:20] offset0:32 offset1:240
	s_waitcnt lgkmcnt(0)
	s_barrier
	buffer_gl0_inv
	ds_load_2addr_b64 v[3:6], v0 offset1:208
	ds_load_2addr_b64 v[7:10], v1 offset0:32 offset1:240
	ds_load_2addr_b64 v[11:14], v93 offset1:208
	ds_load_2addr_b64 v[15:18], v2 offset0:32 offset1:240
	s_waitcnt lgkmcnt(3)
	v_mul_f32_e32 v19, v70, v4
	v_mul_f32_e32 v20, v70, v3
	s_waitcnt lgkmcnt(2)
	v_mul_f32_e32 v22, v72, v8
	v_mul_f32_e32 v21, v68, v6
	;; [unrolled: 1-line block ×3, first 2 shown]
	v_fmac_f32_e32 v19, v69, v3
	v_mul_f32_e32 v3, v68, v5
	v_fma_f32 v4, v69, v4, -v20
	v_mul_f32_e32 v20, v72, v7
	v_dual_fmac_f32 v22, v71, v7 :: v_dual_mul_f32 v7, v66, v9
	v_fmac_f32_e32 v21, v67, v5
	v_fma_f32 v6, v67, v6, -v3
	s_delay_alu instid0(VALU_DEP_4)
	v_fma_f32 v20, v71, v8, -v20
	s_waitcnt lgkmcnt(1)
	v_dual_sub_f32 v3, v11, v19 :: v_dual_sub_f32 v4, v12, v4
	v_fmac_f32_e32 v23, v65, v9
	v_fma_f32 v10, v65, v10, -v7
	v_dual_sub_f32 v5, v13, v21 :: v_dual_sub_f32 v6, v14, v6
	s_delay_alu instid0(VALU_DEP_4)
	v_fma_f32 v7, v11, 2.0, -v3
	v_fma_f32 v8, v12, 2.0, -v4
	s_waitcnt lgkmcnt(0)
	v_dual_sub_f32 v12, v16, v20 :: v_dual_sub_f32 v11, v15, v22
	v_dual_sub_f32 v19, v17, v23 :: v_dual_sub_f32 v20, v18, v10
	v_fma_f32 v9, v13, 2.0, -v5
	v_fma_f32 v10, v14, 2.0, -v6
	s_delay_alu instid0(VALU_DEP_4)
	v_fma_f32 v13, v15, 2.0, -v11
	v_fma_f32 v14, v16, 2.0, -v12
	;; [unrolled: 1-line block ×4, first 2 shown]
	ds_store_2addr_b64 v93, v[7:8], v[9:10] offset1:208
	ds_store_2addr_b64 v0, v[3:4], v[5:6] offset1:208
	ds_store_2addr_b64 v2, v[13:14], v[15:16] offset0:32 offset1:240
	ds_store_2addr_b64 v1, v[11:12], v[19:20] offset0:32 offset1:240
	s_waitcnt lgkmcnt(0)
	s_barrier
	buffer_gl0_inv
	s_and_b32 exec_lo, exec_lo, vcc_lo
	s_cbranch_execz .LBB0_15
; %bb.14:
	s_clause 0x3
	global_load_b64 v[24:25], v92, s[12:13]
	global_load_b64 v[26:27], v92, s[12:13] offset:1024
	global_load_b64 v[28:29], v92, s[12:13] offset:2048
	;; [unrolled: 1-line block ×3, first 2 shown]
	v_lshlrev_b32_e32 v0, 3, v83
	v_lshlrev_b32_e32 v1, 3, v84
	;; [unrolled: 1-line block ×3, first 2 shown]
	v_mad_u64_u32 v[51:52], null, s6, v32, 0
	s_clause 0x2
	global_load_b64 v[33:34], v0, s[12:13]
	global_load_b64 v[35:36], v1, s[12:13]
	;; [unrolled: 1-line block ×3, first 2 shown]
	v_lshlrev_b32_e32 v0, 3, v86
	v_lshlrev_b32_e32 v1, 3, v87
	v_lshlrev_b32_e32 v2, 3, v88
	v_mad_u64_u32 v[55:56], null, s4, v79, 0
	s_clause 0x2
	global_load_b64 v[39:40], v0, s[12:13]
	global_load_b64 v[41:42], v1, s[12:13]
	;; [unrolled: 1-line block ×3, first 2 shown]
	v_lshlrev_b32_e32 v0, 3, v89
	v_lshlrev_b32_e32 v1, 3, v90
	;; [unrolled: 1-line block ×3, first 2 shown]
	s_clause 0x2
	global_load_b64 v[45:46], v0, s[12:13]
	global_load_b64 v[47:48], v1, s[12:13]
	;; [unrolled: 1-line block ×3, first 2 shown]
	ds_load_b64 v[53:54], v93
	v_mad_u64_u32 v[57:58], null, s4, v80, 0
	v_mad_u64_u32 v[59:60], null, s4, v81, 0
	;; [unrolled: 1-line block ×3, first 2 shown]
	ds_load_2addr_stride64_b64 v[0:3], v92 offset0:2 offset1:4
	v_mad_u64_u32 v[63:64], null, s4, v83, 0
	ds_load_2addr_stride64_b64 v[4:7], v92 offset0:6 offset1:8
	ds_load_2addr_stride64_b64 v[8:11], v92 offset0:10 offset1:12
	v_mad_u64_u32 v[65:66], null, s4, v84, 0
	v_mad_u64_u32 v[67:68], null, s4, v85, 0
	;; [unrolled: 1-line block ×3, first 2 shown]
	ds_load_2addr_stride64_b64 v[20:23], v92 offset0:22 offset1:24
	v_mad_u64_u32 v[71:72], null, s4, v87, 0
	s_waitcnt lgkmcnt(4)
	v_mad_u64_u32 v[94:95], null, s7, v32, v[52:53]
	v_mad_u64_u32 v[73:74], null, s4, v88, 0
	ds_load_2addr_stride64_b64 v[12:15], v92 offset0:14 offset1:16
	v_mad_u64_u32 v[95:96], null, s5, v79, v[56:57]
	v_mad_u64_u32 v[75:76], null, s4, v89, 0
	;; [unrolled: 1-line block ×4, first 2 shown]
	ds_load_2addr_stride64_b64 v[16:19], v92 offset0:18 offset1:20
	v_mad_u64_u32 v[77:78], null, s4, v90, 0
	v_mad_u64_u32 v[80:81], null, s5, v82, v[62:63]
	v_mov_b32_e32 v52, v94
	v_mad_u64_u32 v[81:82], null, s5, v83, v[64:65]
	v_mad_u64_u32 v[92:93], null, s4, v91, 0
	;; [unrolled: 1-line block ×6, first 2 shown]
	v_lshlrev_b64 v[51:52], 3, v[51:52]
	v_mad_u64_u32 v[86:87], null, s5, v88, v[74:75]
	v_mad_u64_u32 v[87:88], null, s5, v89, v[76:77]
	;; [unrolled: 1-line block ×4, first 2 shown]
	v_mov_b32_e32 v64, v81
	v_add_co_u32 v81, vcc_lo, s8, v51
	v_mov_b32_e32 v60, v79
	v_mov_b32_e32 v62, v80
	;; [unrolled: 1-line block ×4, first 2 shown]
	v_dual_mov_b32 v70, v84 :: v_dual_mov_b32 v93, v89
	v_mov_b32_e32 v76, v87
	s_mov_b32 s0, 0x13b13b14
	s_mov_b32 s1, 0x3f43b13b
	v_mov_b32_e32 v56, v95
	v_lshlrev_b64 v[79:80], 3, v[92:93]
	v_mov_b32_e32 v58, v96
	s_delay_alu instid0(VALU_DEP_3) | instskip(NEXT) | instid1(VALU_DEP_2)
	v_lshlrev_b64 v[55:56], 3, v[55:56]
	v_lshlrev_b64 v[57:58], 3, v[57:58]
	s_waitcnt vmcnt(12)
	v_mul_f32_e32 v32, v54, v25
	v_mul_f32_e32 v25, v53, v25
	s_waitcnt vmcnt(11) lgkmcnt(5)
	v_mul_f32_e32 v51, v1, v27
	v_mul_f32_e32 v27, v0, v27
	s_waitcnt vmcnt(7) lgkmcnt(3)
	s_delay_alu instid0(VALU_DEP_2)
	v_dual_fmac_f32 v51, v0, v26 :: v_dual_mul_f32 v84, v9, v36
	s_waitcnt vmcnt(6)
	v_mul_f32_e32 v85, v11, v38
	v_dual_mov_b32 v68, v83 :: v_dual_mul_f32 v83, v5, v31
	v_mov_b32_e32 v66, v82
	v_add_co_ci_u32_e32 v82, vcc_lo, s9, v52, vcc_lo
	s_delay_alu instid0(VALU_DEP_3)
	v_dual_mul_f32 v52, v3, v29 :: v_dual_fmac_f32 v83, v4, v30
	v_mul_f32_e32 v29, v2, v29
	v_mul_f32_e32 v31, v4, v31
	;; [unrolled: 1-line block ×4, first 2 shown]
	v_fmac_f32_e32 v52, v2, v28
	v_fma_f32 v28, v28, v3, -v29
	s_waitcnt vmcnt(0) lgkmcnt(2)
	v_dual_mul_f32 v91, v23, v50 :: v_dual_fmac_f32 v32, v53, v24
	v_fma_f32 v24, v24, v54, -v25
	v_mul_f32_e32 v54, v7, v34
	v_mul_f32_e32 v34, v6, v34
	s_delay_alu instid0(VALU_DEP_4)
	v_fmac_f32_e32 v91, v22, v49
	v_fma_f32 v25, v26, v1, -v27
	s_waitcnt lgkmcnt(1)
	v_mul_f32_e32 v86, v13, v40
	v_mul_f32_e32 v40, v12, v40
	v_fma_f32 v53, v30, v5, -v31
	v_mul_f32_e32 v87, v15, v42
	v_mul_f32_e32 v42, v14, v42
	s_waitcnt lgkmcnt(0)
	v_dual_mul_f32 v89, v19, v46 :: v_dual_mov_b32 v78, v88
	v_mul_f32_e32 v88, v17, v44
	v_mul_f32_e32 v44, v16, v44
	v_cvt_f64_f32_e32 v[0:1], v32
	s_delay_alu instid0(VALU_DEP_4)
	v_fmac_f32_e32 v89, v18, v45
	v_fmac_f32_e32 v54, v6, v33
	v_fma_f32 v32, v33, v7, -v34
	v_mul_f32_e32 v46, v18, v46
	v_cvt_f64_f32_e32 v[2:3], v24
	v_fmac_f32_e32 v84, v8, v35
	v_fma_f32 v33, v35, v9, -v36
	v_mul_f32_e32 v90, v21, v48
	v_mul_f32_e32 v48, v20, v48
	v_cvt_f64_f32_e32 v[4:5], v51
	v_cvt_f64_f32_e32 v[24:25], v25
	v_fmac_f32_e32 v85, v10, v37
	v_fma_f32 v34, v37, v11, -v38
	v_mul_f32_e32 v92, v22, v50
	v_cvt_f64_f32_e32 v[26:27], v52
	v_cvt_f64_f32_e32 v[28:29], v28
	v_fmac_f32_e32 v86, v12, v39
	v_fma_f32 v35, v39, v13, -v40
	v_cvt_f64_f32_e32 v[30:31], v83
	v_cvt_f64_f32_e32 v[50:51], v53
	v_fmac_f32_e32 v87, v14, v41
	v_fma_f32 v36, v41, v15, -v42
	v_fmac_f32_e32 v88, v16, v43
	v_fma_f32 v37, v43, v17, -v44
	v_cvt_f64_f32_e32 v[6:7], v54
	v_cvt_f64_f32_e32 v[8:9], v32
	v_fma_f32 v40, v45, v19, -v46
	v_cvt_f64_f32_e32 v[10:11], v84
	v_cvt_f64_f32_e32 v[12:13], v33
	v_fmac_f32_e32 v90, v20, v47
	v_fma_f32 v44, v47, v21, -v48
	v_cvt_f64_f32_e32 v[14:15], v85
	v_cvt_f64_f32_e32 v[16:17], v34
	v_fma_f32 v48, v49, v23, -v92
	v_cvt_f64_f32_e32 v[18:19], v86
	v_cvt_f64_f32_e32 v[20:21], v35
	;; [unrolled: 1-line block ×12, first 2 shown]
	v_mul_f64 v[0:1], v[0:1], s[0:1]
	v_mul_f64 v[2:3], v[2:3], s[0:1]
	;; [unrolled: 1-line block ×4, first 2 shown]
	v_lshlrev_b64 v[59:60], 3, v[59:60]
	v_add_co_u32 v52, vcc_lo, v81, v55
	v_mul_f64 v[26:27], v[26:27], s[0:1]
	v_mul_f64 v[28:29], v[28:29], s[0:1]
	v_add_co_ci_u32_e32 v53, vcc_lo, v82, v56, vcc_lo
	v_mul_f64 v[30:31], v[30:31], s[0:1]
	v_mul_f64 v[50:51], v[50:51], s[0:1]
	v_lshlrev_b64 v[61:62], 3, v[61:62]
	v_add_co_u32 v54, vcc_lo, v81, v57
	v_mul_f64 v[6:7], v[6:7], s[0:1]
	v_mul_f64 v[8:9], v[8:9], s[0:1]
	v_add_co_ci_u32_e32 v55, vcc_lo, v82, v58, vcc_lo
	v_mul_f64 v[10:11], v[10:11], s[0:1]
	v_mul_f64 v[12:13], v[12:13], s[0:1]
	v_lshlrev_b64 v[63:64], 3, v[63:64]
	v_mul_f64 v[14:15], v[14:15], s[0:1]
	v_mul_f64 v[16:17], v[16:17], s[0:1]
	v_add_co_u32 v56, vcc_lo, v81, v59
	v_mul_f64 v[18:19], v[18:19], s[0:1]
	v_mul_f64 v[20:21], v[20:21], s[0:1]
	;; [unrolled: 1-line block ×12, first 2 shown]
	v_cvt_f32_f64_e32 v0, v[0:1]
	v_cvt_f32_f64_e32 v1, v[2:3]
	;; [unrolled: 1-line block ×4, first 2 shown]
	v_add_co_ci_u32_e32 v57, vcc_lo, v82, v60, vcc_lo
	v_cvt_f32_f64_e32 v4, v[26:27]
	v_cvt_f32_f64_e32 v5, v[28:29]
	v_lshlrev_b64 v[65:66], 3, v[65:66]
	v_add_co_u32 v58, vcc_lo, v81, v61
	v_cvt_f32_f64_e32 v24, v[30:31]
	v_cvt_f32_f64_e32 v25, v[50:51]
	v_add_co_ci_u32_e32 v59, vcc_lo, v82, v62, vcc_lo
	v_cvt_f32_f64_e32 v6, v[6:7]
	v_cvt_f32_f64_e32 v7, v[8:9]
	v_lshlrev_b64 v[67:68], 3, v[67:68]
	v_add_co_u32 v60, vcc_lo, v81, v63
	v_cvt_f32_f64_e32 v8, v[10:11]
	v_cvt_f32_f64_e32 v9, v[12:13]
	;; [unrolled: 1-line block ×4, first 2 shown]
	v_add_co_ci_u32_e32 v61, vcc_lo, v82, v64, vcc_lo
	v_cvt_f32_f64_e32 v12, v[18:19]
	v_cvt_f32_f64_e32 v13, v[20:21]
	;; [unrolled: 1-line block ×12, first 2 shown]
	v_lshlrev_b64 v[69:70], 3, v[69:70]
	v_add_co_u32 v62, vcc_lo, v81, v65
	v_add_co_ci_u32_e32 v63, vcc_lo, v82, v66, vcc_lo
	v_lshlrev_b64 v[71:72], 3, v[71:72]
	v_add_co_u32 v26, vcc_lo, v81, v67
	v_add_co_ci_u32_e32 v27, vcc_lo, v82, v68, vcc_lo
	;; [unrolled: 3-line block ×5, first 2 shown]
	v_add_co_u32 v34, vcc_lo, v81, v75
	v_add_co_ci_u32_e32 v35, vcc_lo, v82, v76, vcc_lo
	v_add_co_u32 v36, vcc_lo, v81, v77
	v_add_co_ci_u32_e32 v37, vcc_lo, v82, v78, vcc_lo
	;; [unrolled: 2-line block ×3, first 2 shown]
	s_clause 0xc
	global_store_b64 v[52:53], v[0:1], off
	global_store_b64 v[54:55], v[2:3], off
	;; [unrolled: 1-line block ×13, first 2 shown]
.LBB0_15:
	s_nop 0
	s_sendmsg sendmsg(MSG_DEALLOC_VGPRS)
	s_endpgm
	.section	.rodata,"a",@progbits
	.p2align	6, 0x0
	.amdhsa_kernel bluestein_single_fwd_len1664_dim1_sp_op_CI_CI
		.amdhsa_group_segment_fixed_size 13312
		.amdhsa_private_segment_fixed_size 0
		.amdhsa_kernarg_size 104
		.amdhsa_user_sgpr_count 15
		.amdhsa_user_sgpr_dispatch_ptr 0
		.amdhsa_user_sgpr_queue_ptr 0
		.amdhsa_user_sgpr_kernarg_segment_ptr 1
		.amdhsa_user_sgpr_dispatch_id 0
		.amdhsa_user_sgpr_private_segment_size 0
		.amdhsa_wavefront_size32 1
		.amdhsa_uses_dynamic_stack 0
		.amdhsa_enable_private_segment 0
		.amdhsa_system_sgpr_workgroup_id_x 1
		.amdhsa_system_sgpr_workgroup_id_y 0
		.amdhsa_system_sgpr_workgroup_id_z 0
		.amdhsa_system_sgpr_workgroup_info 0
		.amdhsa_system_vgpr_workitem_id 0
		.amdhsa_next_free_vgpr 198
		.amdhsa_next_free_sgpr 16
		.amdhsa_reserve_vcc 1
		.amdhsa_float_round_mode_32 0
		.amdhsa_float_round_mode_16_64 0
		.amdhsa_float_denorm_mode_32 3
		.amdhsa_float_denorm_mode_16_64 3
		.amdhsa_dx10_clamp 1
		.amdhsa_ieee_mode 1
		.amdhsa_fp16_overflow 0
		.amdhsa_workgroup_processor_mode 1
		.amdhsa_memory_ordered 1
		.amdhsa_forward_progress 0
		.amdhsa_shared_vgpr_count 0
		.amdhsa_exception_fp_ieee_invalid_op 0
		.amdhsa_exception_fp_denorm_src 0
		.amdhsa_exception_fp_ieee_div_zero 0
		.amdhsa_exception_fp_ieee_overflow 0
		.amdhsa_exception_fp_ieee_underflow 0
		.amdhsa_exception_fp_ieee_inexact 0
		.amdhsa_exception_int_div_zero 0
	.end_amdhsa_kernel
	.text
.Lfunc_end0:
	.size	bluestein_single_fwd_len1664_dim1_sp_op_CI_CI, .Lfunc_end0-bluestein_single_fwd_len1664_dim1_sp_op_CI_CI
                                        ; -- End function
	.section	.AMDGPU.csdata,"",@progbits
; Kernel info:
; codeLenInByte = 15076
; NumSgprs: 18
; NumVgprs: 198
; ScratchSize: 0
; MemoryBound: 0
; FloatMode: 240
; IeeeMode: 1
; LDSByteSize: 13312 bytes/workgroup (compile time only)
; SGPRBlocks: 2
; VGPRBlocks: 24
; NumSGPRsForWavesPerEU: 18
; NumVGPRsForWavesPerEU: 198
; Occupancy: 7
; WaveLimiterHint : 1
; COMPUTE_PGM_RSRC2:SCRATCH_EN: 0
; COMPUTE_PGM_RSRC2:USER_SGPR: 15
; COMPUTE_PGM_RSRC2:TRAP_HANDLER: 0
; COMPUTE_PGM_RSRC2:TGID_X_EN: 1
; COMPUTE_PGM_RSRC2:TGID_Y_EN: 0
; COMPUTE_PGM_RSRC2:TGID_Z_EN: 0
; COMPUTE_PGM_RSRC2:TIDIG_COMP_CNT: 0
	.text
	.p2alignl 7, 3214868480
	.fill 96, 4, 3214868480
	.type	__hip_cuid_286713ec76a9db40,@object ; @__hip_cuid_286713ec76a9db40
	.section	.bss,"aw",@nobits
	.globl	__hip_cuid_286713ec76a9db40
__hip_cuid_286713ec76a9db40:
	.byte	0                               ; 0x0
	.size	__hip_cuid_286713ec76a9db40, 1

	.ident	"AMD clang version 19.0.0git (https://github.com/RadeonOpenCompute/llvm-project roc-6.4.0 25133 c7fe45cf4b819c5991fe208aaa96edf142730f1d)"
	.section	".note.GNU-stack","",@progbits
	.addrsig
	.addrsig_sym __hip_cuid_286713ec76a9db40
	.amdgpu_metadata
---
amdhsa.kernels:
  - .args:
      - .actual_access:  read_only
        .address_space:  global
        .offset:         0
        .size:           8
        .value_kind:     global_buffer
      - .actual_access:  read_only
        .address_space:  global
        .offset:         8
        .size:           8
        .value_kind:     global_buffer
      - .actual_access:  read_only
        .address_space:  global
        .offset:         16
        .size:           8
        .value_kind:     global_buffer
      - .actual_access:  read_only
        .address_space:  global
        .offset:         24
        .size:           8
        .value_kind:     global_buffer
      - .actual_access:  read_only
        .address_space:  global
        .offset:         32
        .size:           8
        .value_kind:     global_buffer
      - .offset:         40
        .size:           8
        .value_kind:     by_value
      - .address_space:  global
        .offset:         48
        .size:           8
        .value_kind:     global_buffer
      - .address_space:  global
        .offset:         56
        .size:           8
        .value_kind:     global_buffer
      - .address_space:  global
        .offset:         64
        .size:           8
        .value_kind:     global_buffer
      - .address_space:  global
        .offset:         72
        .size:           8
        .value_kind:     global_buffer
      - .offset:         80
        .size:           4
        .value_kind:     by_value
      - .address_space:  global
        .offset:         88
        .size:           8
        .value_kind:     global_buffer
      - .address_space:  global
        .offset:         96
        .size:           8
        .value_kind:     global_buffer
    .group_segment_fixed_size: 13312
    .kernarg_segment_align: 8
    .kernarg_segment_size: 104
    .language:       OpenCL C
    .language_version:
      - 2
      - 0
    .max_flat_workgroup_size: 208
    .name:           bluestein_single_fwd_len1664_dim1_sp_op_CI_CI
    .private_segment_fixed_size: 0
    .sgpr_count:     18
    .sgpr_spill_count: 0
    .symbol:         bluestein_single_fwd_len1664_dim1_sp_op_CI_CI.kd
    .uniform_work_group_size: 1
    .uses_dynamic_stack: false
    .vgpr_count:     198
    .vgpr_spill_count: 0
    .wavefront_size: 32
    .workgroup_processor_mode: 1
amdhsa.target:   amdgcn-amd-amdhsa--gfx1100
amdhsa.version:
  - 1
  - 2
...

	.end_amdgpu_metadata
